;; amdgpu-corpus repo=ggml-org/llama.cpp kind=compiled arch=gfx90a opt=O3
	.text
	.amdgcn_target "amdgcn-amd-amdhsa--gfx90a"
	.amdhsa_code_object_version 6
	.section	.text._ZL18flash_attn_ext_vecILi64ELi1EL9ggml_type6ELS0_8ELb0EEvPKcS2_S2_S2_S2_PKiPfP15HIP_vector_typeIfLj2EEffffjfiS6_IjLj3EEiiiiiiiiiiiliiliiiiil,"axG",@progbits,_ZL18flash_attn_ext_vecILi64ELi1EL9ggml_type6ELS0_8ELb0EEvPKcS2_S2_S2_S2_PKiPfP15HIP_vector_typeIfLj2EEffffjfiS6_IjLj3EEiiiiiiiiiiiliiliiiiil,comdat
	.globl	_ZL18flash_attn_ext_vecILi64ELi1EL9ggml_type6ELS0_8ELb0EEvPKcS2_S2_S2_S2_PKiPfP15HIP_vector_typeIfLj2EEffffjfiS6_IjLj3EEiiiiiiiiiiiliiliiiiil ; -- Begin function _ZL18flash_attn_ext_vecILi64ELi1EL9ggml_type6ELS0_8ELb0EEvPKcS2_S2_S2_S2_PKiPfP15HIP_vector_typeIfLj2EEffffjfiS6_IjLj3EEiiiiiiiiiiiliiliiiiil
	.p2align	8
	.type	_ZL18flash_attn_ext_vecILi64ELi1EL9ggml_type6ELS0_8ELb0EEvPKcS2_S2_S2_S2_PKiPfP15HIP_vector_typeIfLj2EEffffjfiS6_IjLj3EEiiiiiiiiiiiliiliiiiil,@function
_ZL18flash_attn_ext_vecILi64ELi1EL9ggml_type6ELS0_8ELb0EEvPKcS2_S2_S2_S2_PKiPfP15HIP_vector_typeIfLj2EEffffjfiS6_IjLj3EEiiiiiiiiiiiliiliiiiil: ; @_ZL18flash_attn_ext_vecILi64ELi1EL9ggml_type6ELS0_8ELb0EEvPKcS2_S2_S2_S2_PKiPfP15HIP_vector_typeIfLj2EEffffjfiS6_IjLj3EEiiiiiiiiiiiliiliiiiil
; %bb.0:
	s_load_dwordx2 s[34:35], s[4:5], 0x64
	s_load_dwordx2 s[42:43], s[4:5], 0x80
	;; [unrolled: 1-line block ×3, first 2 shown]
	v_mov_b32_e32 v95, 1.0
	s_waitcnt lgkmcnt(0)
	v_cvt_f32_u32_e32 v1, s35
	s_sub_i32 s0, 0, s35
	v_rcp_iflag_f32_e32 v1, v1
	v_mul_f32_e32 v1, 0x4f7ffffe, v1
	v_cvt_u32_f32_e32 v1, v1
	v_readfirstlane_b32 s1, v1
	s_mul_i32 s0, s0, s1
	s_mul_hi_u32 s0, s1, s0
	s_add_i32 s1, s1, s0
	s_mul_hi_u32 s0, s8, s1
	s_mul_i32 s1, s0, s35
	s_sub_i32 s1, s8, s1
	s_add_i32 s2, s0, 1
	s_sub_i32 s3, s1, s35
	s_cmp_ge_u32 s1, s35
	s_cselect_b32 s0, s2, s0
	s_cselect_b32 s1, s3, s1
	s_add_i32 s2, s0, 1
	s_cmp_ge_u32 s1, s35
	s_cselect_b32 s33, s2, s0
	s_abs_i32 s1, s43
	v_cvt_f32_u32_e32 v1, s1
	s_mul_i32 s9, s33, s35
	s_sub_i32 s16, 0, s1
	s_sub_i32 s40, s8, s9
	v_rcp_iflag_f32_e32 v1, v1
	s_abs_i32 s3, s35
	s_xor_b32 s2, s35, s43
	s_ashr_i32 s2, s2, 31
	v_mul_f32_e32 v1, 0x4f7ffffe, v1
	v_cvt_u32_f32_e32 v1, v1
	s_load_dwordx4 s[12:15], s[4:5], 0x40
	s_load_dword s0, s[4:5], 0x50
	v_readfirstlane_b32 s8, v1
	s_mul_i32 s16, s16, s8
	s_mul_hi_u32 s9, s8, s16
	s_add_i32 s8, s8, s9
	s_mul_hi_u32 s8, s3, s8
	s_mul_i32 s9, s8, s1
	s_sub_i32 s3, s3, s9
	s_add_i32 s16, s8, 1
	s_sub_i32 s9, s3, s1
	s_cmp_ge_u32 s3, s1
	s_cselect_b32 s8, s16, s8
	s_cselect_b32 s3, s9, s3
	s_add_i32 s9, s8, 1
	s_cmp_ge_u32 s3, s1
	s_cselect_b32 s1, s9, s8
	s_xor_b32 s1, s1, s2
	s_sub_i32 s36, s1, s2
	s_abs_i32 s45, s36
	s_abs_i32 s10, s10
	v_cvt_f32_u32_e32 v2, s45
	v_cvt_f32_u32_e32 v1, s10
	s_sub_i32 s2, 0, s45
	s_sub_i32 s1, 0, s10
	v_rcp_iflag_f32_e32 v2, v2
	v_rcp_iflag_f32_e32 v1, v1
	s_abs_i32 s46, s40
	s_abs_i32 s44, s33
	v_mul_f32_e32 v2, 0x4f7ffffe, v2
	v_mul_f32_e32 v1, 0x4f7ffffe, v1
	v_cvt_u32_f32_e32 v2, v2
	v_cvt_u32_f32_e32 v1, v1
	v_readfirstlane_b32 s16, v2
	v_readfirstlane_b32 s37, v1
	s_mul_i32 s2, s2, s16
	s_mul_i32 s1, s1, s37
	s_mul_hi_u32 s2, s16, s2
	s_add_i32 s16, s16, s2
	s_mul_hi_u32 s1, s37, s1
	s_waitcnt lgkmcnt(0)
	v_cmp_le_f32_e64 s[2:3], s13, 0
	s_add_i32 s37, s37, s1
	s_and_b64 vcc, exec, s[2:3]
	s_cbranch_vccnz .LBB0_2
; %bb.1:
	s_sub_i32 s1, s40, s0
	s_lshl_b32 s1, s1, 1
	s_add_i32 s2, s40, 1
	s_or_b32 s3, s1, 1
	s_cmp_lt_u32 s40, s0
	s_cselect_b64 vcc, -1, 0
	s_and_b64 s[0:1], vcc, exec
	v_mov_b32_e32 v1, s15
	v_mov_b32_e32 v2, s14
	s_cselect_b32 s0, s2, s3
	v_cndmask_b32_e32 v18, v1, v2, vcc
	v_cvt_f32_i32_e32 v1, s0
	v_cmp_neq_f32_e32 vcc, 1.0, v18
	s_mov_b32 s0, 0x3f2aaaab
	s_movk_i32 s2, 0x204
	v_cndmask_b32_e32 v19, 1.0, v1, vcc
	v_cmp_eq_f32_e32 vcc, 0, v19
	v_cndmask_b32_e64 v20, |v18|, 1.0, vcc
	v_frexp_mant_f32_e32 v1, v20
	v_cmp_gt_f32_e64 s[0:1], s0, v1
	v_cndmask_b32_e64 v2, 1.0, 2.0, s[0:1]
	v_mul_f32_e32 v1, v1, v2
	v_add_f32_e32 v2, 1.0, v1
	v_rcp_f32_e32 v10, v2
	v_add_f32_e32 v3, -1.0, v2
	v_sub_f32_e32 v5, v1, v3
	v_add_f32_e32 v3, -1.0, v1
	v_mul_f32_e32 v1, v3, v10
	v_mul_f32_e32 v4, v2, v1
	v_fma_f32 v6, v1, v2, -v4
	v_fmac_f32_e32 v6, v1, v5
	v_add_f32_e32 v2, v4, v6
	v_sub_f32_e32 v5, v3, v2
	v_pk_add_f32 v[8:9], v[2:3], v[4:5] neg_lo:[0,1] neg_hi:[0,1]
	v_mov_b32_e32 v7, v2
	v_pk_add_f32 v[2:3], v[8:9], v[6:7] neg_lo:[0,1] neg_hi:[0,1]
	v_add_f32_e32 v2, v2, v3
	v_add_f32_e32 v2, v5, v2
	v_mul_f32_e32 v3, v10, v2
	v_add_f32_e32 v2, v1, v3
	v_sub_f32_e32 v1, v2, v1
	v_sub_f32_e32 v1, v3, v1
	v_mul_f32_e32 v3, v2, v2
	v_fma_f32 v5, v2, v2, -v3
	v_add_f32_e32 v4, v1, v1
	v_fmac_f32_e32 v5, v2, v4
	v_add_f32_e32 v4, v3, v5
	v_mov_b32_e32 v6, 0x3e91f4c4
	v_fmac_f32_e32 v6, 0x3e76c4e1, v4
	v_mov_b32_e32 v7, 0x3ecccdef
	v_fmac_f32_e32 v7, v4, v6
	v_sub_f32_e32 v3, v4, v3
	v_sub_f32_e32 v12, v5, v3
	v_mul_f32_e32 v3, v4, v7
	v_fma_f32 v5, v4, v7, -v3
	v_fmac_f32_e32 v5, v12, v7
	v_add_f32_e32 v6, v3, v5
	v_add_f32_e32 v7, 0x3f2aaaaa, v6
	v_sub_f32_e32 v3, v6, v3
	v_sub_f32_e32 v3, v5, v3
	v_add_f32_e32 v5, 0xbf2aaaaa, v7
	v_add_f32_e32 v3, 0x31739010, v3
	v_sub_f32_e32 v5, v6, v5
	v_pk_mul_f32 v[8:9], v[2:3], v[4:5]
	v_fma_f32 v6, v4, v2, -v8
	v_pk_add_f32 v[10:11], v[2:3], v[4:5]
	v_fmac_f32_e32 v6, v4, v1
	v_mov_b32_e32 v9, v11
	v_fmac_f32_e32 v6, v12, v2
	v_pk_add_f32 v[4:5], v[8:9], v[6:7]
	v_sub_f32_e32 v3, v4, v8
	v_sub_f32_e32 v3, v6, v3
	;; [unrolled: 1-line block ×3, first 2 shown]
	v_add_f32_e32 v9, v11, v6
	v_mov_b32_e32 v6, v5
	v_pk_mul_f32 v[6:7], v[4:5], v[6:7]
	v_cvt_f64_f32_e32 v[10:11], v20
	v_frexp_exp_i32_f64_e32 v7, v[10:11]
	v_subbrev_co_u32_e64 v7, s[0:1], 0, v7, s[0:1]
	v_cvt_f32_i32_e32 v7, v7
	v_fma_f32 v8, v4, v5, -v6
	v_fmac_f32_e32 v8, v4, v9
	s_mov_b32 s0, 0x3f317218
	v_mul_f32_e32 v4, 0x3f317218, v7
	v_fmac_f32_e32 v8, v3, v5
	v_fma_f32 v10, v7, s0, -v4
	v_fmac_f32_e32 v10, 0xb102e308, v7
	v_ldexp_f32 v11, v2, 1
	v_add_f32_e32 v5, v6, v8
	v_pk_add_f32 v[2:3], v[4:5], v[10:11]
	v_mov_b32_e32 v12, v5
	v_mov_b32_e32 v13, v3
	;; [unrolled: 1-line block ×3, first 2 shown]
	v_pk_add_f32 v[6:7], v[12:13], v[6:7] neg_lo:[0,1] neg_hi:[0,1]
	v_mov_b32_e32 v9, v5
	v_ldexp_f32 v1, v1, 1
	v_pk_add_f32 v[6:7], v[8:9], v[6:7] neg_lo:[0,1] neg_hi:[0,1]
	v_add_f32_e32 v1, v1, v6
	v_add_f32_e32 v5, v1, v7
	v_pk_add_f32 v[6:7], v[2:3], v[4:5] neg_lo:[0,1] neg_hi:[0,1]
	v_pk_add_f32 v[8:9], v[2:3], v[4:5]
	v_mov_b32_e32 v12, v6
	v_mov_b32_e32 v13, v9
	;; [unrolled: 1-line block ×3, first 2 shown]
	v_pk_add_f32 v[12:13], v[10:11], v[12:13]
	v_mov_b32_e32 v4, v13
	v_pk_add_f32 v[14:15], v[4:5], v[2:3] neg_lo:[0,1] neg_hi:[0,1]
	v_mov_b32_e32 v1, v14
	v_mov_b32_e32 v12, v9
	v_mov_b32_e32 v2, v3
	v_mov_b32_e32 v3, v14
	v_pk_add_f32 v[6:7], v[10:11], v[6:7] neg_lo:[0,1] neg_hi:[0,1]
	v_pk_add_f32 v[16:17], v[8:9], v[0:1] neg_lo:[0,1] neg_hi:[0,1]
	;; [unrolled: 1-line block ×3, first 2 shown]
	v_mov_b32_e32 v10, v5
	v_pk_add_f32 v[2:3], v[10:11], v[2:3] neg_lo:[0,1] neg_hi:[0,1]
	v_mov_b32_e32 v16, v6
	v_pk_add_f32 v[8:9], v[16:17], v[2:3]
	v_mov_b32_e32 v10, v9
	v_pk_add_f32 v[10:11], v[8:9], v[10:11]
	v_pk_add_f32 v[4:5], v[4:5], v[10:11]
	v_mov_b32_e32 v7, v13
	v_mov_b32_e32 v9, v4
	v_pk_add_f32 v[12:13], v[8:9], v[6:7] neg_lo:[0,1] neg_hi:[0,1]
	v_mov_b32_e32 v3, v10
	v_sub_f32_e32 v1, v8, v12
	v_pk_add_f32 v[2:3], v[2:3], v[12:13] neg_lo:[0,1] neg_hi:[0,1]
	v_sub_f32_e32 v1, v6, v1
	v_add_f32_e32 v1, v2, v1
	v_add_f32_e32 v1, v1, v3
	;; [unrolled: 1-line block ×3, first 2 shown]
	v_sub_f32_e32 v3, v2, v4
	v_sub_f32_e32 v1, v1, v3
	v_mul_f32_e32 v3, v19, v2
	v_fma_f32 v2, v19, v2, -v3
	v_fmac_f32_e32 v2, v19, v1
	v_add_f32_e32 v1, v3, v2
	v_cmp_class_f32_e64 s[0:1], v3, s2
	v_sub_f32_e32 v4, v1, v3
	v_cndmask_b32_e64 v1, v1, v3, s[0:1]
	s_mov_b32 s8, 0x42b17218
	v_mov_b32_e32 v3, 0x37000000
	v_cmp_eq_f32_e64 s[0:1], s8, v1
	v_cndmask_b32_e64 v3, 0, v3, s[0:1]
	v_sub_f32_e32 v2, v2, v4
	v_sub_f32_e32 v4, v1, v3
	s_mov_b32 s0, 0x3fb8aa3b
	v_mul_f32_e32 v5, 0x3fb8aa3b, v4
	v_fma_f32 v6, v4, s0, -v5
	v_rndne_f32_e32 v7, v5
	v_fmac_f32_e32 v6, 0x32a5705f, v4
	v_sub_f32_e32 v5, v5, v7
	v_add_f32_e32 v5, v5, v6
	v_exp_f32_e32 v5, v5
	v_cvt_i32_f32_e32 v6, v7
	s_mov_b32 s3, 0x7f800000
	v_cmp_neq_f32_e64 s[0:1], |v1|, s3
	v_cndmask_b32_e64 v1, 0, v2, s[0:1]
	s_mov_b32 s0, 0xc2ce8ed0
	v_ldexp_f32 v2, v5, v6
	v_cmp_ngt_f32_e64 s[0:1], s0, v4
	v_add_f32_e32 v1, v3, v1
	v_cndmask_b32_e64 v2, 0, v2, s[0:1]
	v_mov_b32_e32 v3, 0x7f800000
	v_cmp_nlt_f32_e64 s[0:1], s8, v4
	v_cndmask_b32_e64 v2, v3, v2, s[0:1]
	v_fma_f32 v1, v2, v1, v2
	v_cmp_class_f32_e64 s[0:1], v2, s2
	v_trunc_f32_e32 v4, v19
	v_cndmask_b32_e64 v1, v1, v2, s[0:1]
	v_cndmask_b32_e64 v2, v18, 1.0, vcc
	v_cmp_eq_f32_e32 vcc, v4, v19
	v_mul_f32_e32 v4, 0.5, v19
	v_trunc_f32_e32 v6, v4
	v_cmp_neq_f32_e64 s[0:1], v6, v4
	s_and_b64 s[0:1], vcc, s[0:1]
	v_cndmask_b32_e64 v4, 1.0, v2, s[0:1]
	s_brev_b32 s13, -2
	v_mov_b32_e32 v5, 0x7fc00000
	v_bfi_b32 v1, s13, v1, v4
	v_cndmask_b32_e32 v4, v5, v1, vcc
	v_cmp_gt_f32_e32 vcc, 0, v2
	v_cndmask_b32_e32 v1, v1, v4, vcc
	v_cmp_eq_f32_e32 vcc, s3, v20
	v_cmp_eq_f32_e64 s[2:3], 0, v2
	v_cmp_gt_f32_e64 s[8:9], 0, v19
	s_xor_b64 s[8:9], s[8:9], s[2:3]
	v_cndmask_b32_e64 v3, v3, 0, s[8:9]
	v_cndmask_b32_e64 v4, 0, v2, s[0:1]
	v_bfi_b32 v3, s13, v3, v4
	s_or_b64 vcc, vcc, s[2:3]
	v_cndmask_b32_e32 v1, v1, v3, vcc
	v_cmp_o_f32_e32 vcc, v2, v2
	v_cndmask_b32_e32 v95, v5, v1, vcc
.LBB0_2:
	s_mul_hi_u32 s15, s46, s16
	s_load_dwordx16 s[16:31], s[4:5], 0x0
	v_bfe_u32 v92, v0, 10, 10
	s_mul_hi_u32 s14, s44, s37
	v_and_b32_e32 v93, 0x3ff, v0
	v_cmp_eq_u32_e64 s[0:1], 0, v92
	s_and_saveexec_b64 s[8:9], s[0:1]
	s_cbranch_execz .LBB0_15
; %bb.3:
	s_load_dwordx4 s[48:51], s[4:5], 0x70
	v_lshlrev_b32_e32 v0, 4, v93
	v_cmp_gt_u32_e32 vcc, 16, v93
	v_mov_b32_e32 v3, 0
	v_mov_b32_e32 v5, 0
	s_waitcnt lgkmcnt(0)
	s_mul_i32 s2, s33, s50
	s_mul_i32 s13, s6, s48
	;; [unrolled: 1-line block ×3, first 2 shown]
	s_add_i32 s2, s2, s13
	s_add_i32 s2, s2, s3
	s_ashr_i32 s3, s2, 31
	s_add_u32 s2, s16, s2
	s_addc_u32 s3, s17, s3
	v_mov_b32_e32 v1, s3
	v_add_co_u32_e64 v0, s[2:3], s2, v0
	v_addc_co_u32_e64 v1, s[2:3], 0, v1, s[2:3]
	s_and_saveexec_b64 s[2:3], vcc
	s_cbranch_execz .LBB0_5
; %bb.4:
	global_load_dword v2, v[0:1], off
	s_waitcnt vmcnt(0)
	v_mul_f32_e32 v5, s12, v2
.LBB0_5:
	s_or_b64 exec, exec, s[2:3]
	s_and_saveexec_b64 s[2:3], vcc
	s_cbranch_execz .LBB0_7
; %bb.6:
	global_load_dword v2, v[0:1], off offset:4
	s_waitcnt vmcnt(0)
	v_mul_f32_e32 v3, s12, v2
.LBB0_7:
	s_or_b64 exec, exec, s[2:3]
	v_mov_b32_e32 v2, 0
	v_mov_b32_e32 v4, 0
	s_and_saveexec_b64 s[2:3], vcc
	s_cbranch_execz .LBB0_9
; %bb.8:
	global_load_dword v4, v[0:1], off offset:8
	s_waitcnt vmcnt(0)
	v_mul_f32_e32 v4, s12, v4
.LBB0_9:
	s_or_b64 exec, exec, s[2:3]
	s_and_saveexec_b64 s[2:3], vcc
	s_cbranch_execz .LBB0_11
; %bb.10:
	global_load_dword v0, v[0:1], off offset:12
	s_waitcnt vmcnt(0)
	v_mul_f32_e32 v2, s12, v0
.LBB0_11:
	s_or_b64 exec, exec, s[2:3]
	v_mbcnt_lo_u32_b32 v0, -1, 0
	v_mbcnt_hi_u32_b32 v0, -1, v0
	v_and_b32_e32 v1, 0x60, v0
	v_add_u32_e32 v1, 32, v1
	v_xor_b32_e32 v6, 4, v0
	v_cmp_lt_i32_e32 vcc, v6, v1
	v_max_f32_e64 v8, |v3|, |v3|
	v_max_f32_e64 v9, |v5|, |v5|
	v_cndmask_b32_e32 v6, v0, v6, vcc
	v_max_f32_e32 v8, v9, v8
	v_lshlrev_b32_e32 v6, 2, v6
	v_max3_f32 v8, v8, |v4|, |v2|
	ds_bpermute_b32 v9, v6, v8
	v_xor_b32_e32 v7, 2, v0
	v_cmp_lt_i32_e32 vcc, v7, v1
	v_xor_b32_e32 v10, 1, v0
	v_cndmask_b32_e32 v7, v0, v7, vcc
	v_cmp_lt_i32_e32 vcc, v10, v1
	s_waitcnt lgkmcnt(0)
	v_max_f32_e32 v1, v9, v9
	v_lshlrev_b32_e32 v7, 2, v7
	v_max_f32_e32 v1, v8, v1
	ds_bpermute_b32 v8, v7, v1
	v_add_f32_e32 v9, v5, v3
	v_add_f32_e32 v9, v9, v4
	v_cndmask_b32_e32 v0, v0, v10, vcc
	v_add_f32_e32 v9, v9, v2
	s_waitcnt lgkmcnt(0)
	v_max_f32_e32 v8, v8, v8
	v_lshlrev_b32_e32 v0, 2, v0
	ds_bpermute_b32 v6, v6, v9
	v_max_f32_e32 v1, v1, v8
	ds_bpermute_b32 v8, v0, v1
	s_mov_b32 s12, 0x42fe0000
	s_waitcnt lgkmcnt(1)
	v_add_f32_e32 v6, v9, v6
	ds_bpermute_b32 v9, v7, v6
	s_waitcnt lgkmcnt(1)
	v_max_f32_e32 v7, v8, v8
	v_max_f32_e32 v8, v1, v7
	v_div_scale_f32 v10, s[2:3], s12, s12, v8
	v_rcp_f32_e32 v11, v10
	s_waitcnt lgkmcnt(0)
	v_add_f32_e32 v1, v6, v9
	ds_bpermute_b32 v6, v0, v1
	v_mov_b32_e32 v7, 0
	v_fma_f32 v0, -v10, v11, 1.0
	v_fmac_f32_e32 v11, v0, v11
	v_div_scale_f32 v0, vcc, v8, s12, v8
	v_mul_f32_e32 v9, v0, v11
	v_fma_f32 v12, -v10, v9, v0
	v_fmac_f32_e32 v9, v12, v11
	v_fma_f32 v0, -v10, v9, v0
	v_div_fmas_f32 v0, v0, v11, v9
	v_div_fixup_f32 v0, v0, s12, v8
	v_cmp_neq_f32_e32 vcc, 0, v0
	s_and_saveexec_b64 s[2:3], vcc
	s_cbranch_execz .LBB0_13
; %bb.12:
	v_div_scale_f32 v7, s[12:13], v0, v0, v5
	v_rcp_f32_e32 v8, v7
	v_div_scale_f32 v9, vcc, v5, v0, v5
	s_brev_b32 s16, -2
	v_fma_f32 v10, -v7, v8, 1.0
	v_fmac_f32_e32 v8, v10, v8
	v_mul_f32_e32 v10, v9, v8
	v_fma_f32 v11, -v7, v10, v9
	v_fmac_f32_e32 v10, v11, v8
	v_fma_f32 v7, -v7, v10, v9
	v_div_fmas_f32 v7, v7, v8, v10
	v_div_fixup_f32 v5, v7, v0, v5
	v_trunc_f32_e32 v7, v5
	v_sub_f32_e32 v8, v5, v7
	v_cmp_ge_f32_e64 s[12:13], |v8|, 0.5
	v_cndmask_b32_e64 v8, 0, 1.0, s[12:13]
	v_div_scale_f32 v9, s[12:13], v0, v0, v3
	v_rcp_f32_e32 v10, v9
	v_bfi_b32 v5, s16, v8, v5
	v_add_f32_e32 v5, v7, v5
	v_cvt_i32_f32_e32 v5, v5
	v_fma_f32 v7, -v9, v10, 1.0
	v_fmac_f32_e32 v10, v7, v10
	v_div_scale_f32 v7, vcc, v3, v0, v3
	v_mul_f32_e32 v8, v7, v10
	v_fma_f32 v11, -v9, v8, v7
	v_fmac_f32_e32 v8, v11, v10
	v_fma_f32 v7, -v9, v8, v7
	v_div_fmas_f32 v7, v7, v10, v8
	v_div_fixup_f32 v3, v7, v0, v3
	v_trunc_f32_e32 v7, v3
	v_div_scale_f32 v9, s[12:13], v0, v0, v4
	v_sub_f32_e32 v8, v3, v7
	v_rcp_f32_e32 v10, v9
	v_cmp_ge_f32_e64 s[12:13], |v8|, 0.5
	v_cndmask_b32_e64 v8, 0, 1.0, s[12:13]
	v_bfi_b32 v3, s16, v8, v3
	v_add_f32_e32 v3, v7, v3
	v_fma_f32 v7, -v9, v10, 1.0
	v_fmac_f32_e32 v10, v7, v10
	v_div_scale_f32 v7, vcc, v4, v0, v4
	v_mul_f32_e32 v8, v7, v10
	v_fma_f32 v11, -v9, v8, v7
	v_fmac_f32_e32 v8, v11, v10
	v_fma_f32 v7, -v9, v8, v7
	v_div_fmas_f32 v7, v7, v10, v8
	v_div_fixup_f32 v4, v7, v0, v4
	v_trunc_f32_e32 v7, v4
	v_sub_f32_e32 v8, v4, v7
	v_cmp_ge_f32_e64 s[12:13], |v8|, 0.5
	v_cndmask_b32_e64 v8, 0, 1.0, s[12:13]
	v_div_scale_f32 v9, s[12:13], v0, v0, v2
	v_rcp_f32_e32 v10, v9
	v_bfi_b32 v4, s16, v8, v4
	v_add_f32_e32 v4, v7, v4
	v_cvt_i32_f32_e32 v4, v4
	v_fma_f32 v7, -v9, v10, 1.0
	v_fmac_f32_e32 v10, v7, v10
	v_div_scale_f32 v7, vcc, v2, v0, v2
	v_mul_f32_e32 v8, v7, v10
	v_fma_f32 v11, -v9, v8, v7
	v_fmac_f32_e32 v8, v11, v10
	v_fma_f32 v7, -v9, v8, v7
	v_div_fmas_f32 v7, v7, v10, v8
	v_div_fixup_f32 v2, v7, v0, v2
	v_trunc_f32_e32 v7, v2
	v_sub_f32_e32 v8, v2, v7
	v_cmp_ge_f32_e64 s[12:13], |v8|, 0.5
	v_cndmask_b32_e64 v8, 0, 1.0, s[12:13]
	v_bfi_b32 v2, s16, v8, v2
	v_add_f32_e32 v2, v7, v2
	v_cvt_i32_f32_e32 v2, v2
	v_cvt_i32_f32_e32 v3, v3
	v_and_b32_e32 v4, 0xff, v4
	v_lshlrev_b32_e32 v4, 16, v4
	v_lshl_or_b32 v2, v2, 24, v4
	v_mov_b32_e32 v4, 8
	v_lshlrev_b32_sdwa v3, v4, v3 dst_sel:DWORD dst_unused:UNUSED_PAD src0_sel:DWORD src1_sel:BYTE_0
	v_and_b32_e32 v4, 0xff, v5
	v_or3_b32 v7, v2, v3, v4
.LBB0_13:
	s_or_b64 exec, exec, s[2:3]
	v_and_b32_e32 v3, 0x77, v93
	v_lshlrev_b32_e32 v2, 2, v93
	v_cmp_eq_u32_e32 vcc, 0, v3
	ds_write_b32 v2, v7
	s_and_b64 exec, exec, vcc
	s_cbranch_execz .LBB0_15
; %bb.14:
	s_waitcnt lgkmcnt(1)
	v_add_f32_e32 v1, v1, v6
	ds_write_b64 v93, v[0:1] offset:64
.LBB0_15:
	s_or_b64 exec, exec, s[8:9]
	v_and_b32_e32 v10, 3, v93
	v_lshlrev_b32_e32 v4, 2, v10
	v_mov_b32_e32 v99, 0
	s_waitcnt lgkmcnt(0)
	s_barrier
	ds_read2_b32 v[6:7], v4 offset1:4
	ds_read2_b32 v[8:9], v4 offset0:8 offset1:12
	ds_read_b128 v[0:3], v99 offset:64
	s_ashr_i32 s41, s40, 31
	s_ashr_i32 s2, s36, 31
	;; [unrolled: 1-line block ×3, first 2 shown]
	s_cmp_eq_u64 s[26:27], 0
	s_waitcnt lgkmcnt(0)
	s_barrier
	s_cbranch_scc1 .LBB0_17
; %bb.16:
	s_load_dword s3, s[4:5], 0xd0
	s_mov_b32 s9, 0
	s_waitcnt lgkmcnt(0)
	s_mul_i32 s3, s3, s33
	s_add_i32 s8, s3, s6
	s_lshl_b64 s[8:9], s[8:9], 2
	s_add_u32 s8, s26, s8
	s_addc_u32 s9, s27, s9
	s_load_dword s42, s[8:9], 0x0
.LBB0_17:
	v_lshlrev_b32_e32 v16, 5, v92
	v_add_u32_e32 v94, v16, v93
	s_lshl_b32 s16, s7, 7
	s_mov_b32 s43, 0
	s_waitcnt lgkmcnt(0)
	s_cmp_ge_i32 s16, s42
	v_mov_b32_e32 v111, 0xfeffffff
	v_mov_b32_e32 v109, 0
	v_mbcnt_lo_u32_b32 v98, -1, 0
	v_lshlrev_b32_e32 v96, 1, v94
	v_lshlrev_b32_e32 v97, 2, v93
	v_mov_b32_e32 v5, 0
	s_cbranch_scc1 .LBB0_29
; %bb.18:
	s_load_dwordx4 s[36:39], s[4:5], 0x98
	s_load_dwordx2 s[12:13], s[4:5], 0x8c
	s_xor_b32 s2, s41, s2
	s_mul_i32 s14, s14, s10
	s_mul_i32 s60, s6, s11
	s_waitcnt lgkmcnt(0)
	s_mul_i32 s37, s33, s37
	s_mul_i32 s8, s57, s36
	s_mul_hi_u32 s3, s33, s36
	s_add_i32 s37, s37, s8
	s_add_i32 s49, s37, s3
	s_mul_i32 s3, s15, s45
	s_sub_i32 s3, s46, s3
	s_add_i32 s8, s15, 1
	s_sub_i32 s9, s3, s45
	s_cmp_ge_u32 s3, s45
	s_cselect_b32 s8, s8, s15
	s_cselect_b32 s3, s9, s3
	s_add_i32 s9, s8, 1
	s_cmp_ge_u32 s3, s45
	s_cselect_b32 s3, s9, s8
	s_xor_b32 s3, s3, s2
	s_sub_i32 s51, s3, s2
	s_mul_i32 s13, s51, s13
	s_mul_i32 s51, s51, s39
	s_sub_i32 s2, s44, s14
	s_ashr_i32 s50, s13, 31
	s_ashr_i32 s52, s51, 31
	s_sub_i32 s3, s2, s10
	s_cmp_ge_u32 s2, s10
	s_cselect_b32 s2, s3, s2
	s_sub_i32 s3, s2, s10
	s_cmp_ge_u32 s2, s10
	s_cselect_b32 s8, s3, s2
	s_load_dwordx2 s[46:47], s[4:5], 0xa8
	s_load_dwordx2 s[2:3], s[4:5], 0xc8
	s_xor_b32 s8, s8, s57
	s_sub_i32 s8, s8, s57
	s_load_dword s10, s[4:5], 0xd4
	s_ashr_i32 s9, s8, 31
	s_waitcnt lgkmcnt(0)
	s_mul_i32 s3, s8, s3
	s_mul_hi_u32 s14, s8, s2
	s_add_i32 s3, s14, s3
	s_mul_i32 s9, s9, s2
	v_and_b32_e32 v5, 0x7c, v93
	s_add_i32 s39, s3, s9
	s_ashr_i32 s61, s60, 31
	v_add_u32_e32 v17, v16, v5
	v_mbcnt_hi_u32_b32 v5, -1, v98
	v_and_b32_e32 v11, 0x7c, v5
	s_cmp_lg_u64 s[22:23], 0
	v_add_u32_e32 v11, 4, v11
	v_xor_b32_e32 v12, 2, v5
	s_cselect_b64 s[26:27], -1, 0
	s_lshl_b32 s44, s10, 7
	v_cmp_lt_i32_e32 vcc, v12, v11
	s_add_u32 s53, s18, s13
	s_mul_i32 s48, s33, s36
	v_cndmask_b32_e32 v14, v5, v12, vcc
	v_xor_b32_e32 v12, 1, v5
	s_addc_u32 s54, s19, s50
	s_mov_b32 s17, s43
	v_cmp_lt_i32_e32 vcc, v12, v11
	v_and_b32_e32 v11, 0x60, v5
	s_add_u32 s55, s53, s48
	s_mul_i32 s45, s8, s2
	v_add_u32_e32 v11, 32, v11
	v_cmp_eq_u32_e64 s[2:3], 3, v10
	v_cmp_eq_u32_e64 s[14:15], 0, v10
	;; [unrolled: 1-line block ×4, first 2 shown]
	v_xor_b32_e32 v10, 4, v5
	s_addc_u32 s56, s54, s49
	s_lshl_b64 s[58:59], s[16:17], 1
	v_cndmask_b32_e32 v15, v5, v12, vcc
	v_cmp_lt_i32_e32 vcc, v10, v11
	s_add_u32 s17, s45, s58
	v_cndmask_b32_e32 v20, v5, v10, vcc
	v_xor_b32_e32 v10, 8, v5
	s_addc_u32 s39, s39, s59
	v_cmp_lt_i32_e32 vcc, v10, v11
	s_add_u32 s22, s22, s60
	v_cndmask_b32_e32 v21, v5, v10, vcc
	v_xor_b32_e32 v10, 16, v5
	s_addc_u32 s23, s23, s61
	v_cmp_lt_i32_e32 vcc, v10, v11
	s_add_u32 s17, s22, s17
	v_cndmask_b32_e32 v22, v5, v10, vcc
	v_lshlrev_b32_e32 v5, 1, v17
	s_addc_u32 s22, s23, s39
	v_mov_b32_e32 v10, s22
	v_add_co_u32_e32 v5, vcc, s17, v5
	v_bfe_u32 v12, v93, 3, 1
	v_addc_co_u32_e32 v11, vcc, 0, v10, vcc
	v_add_co_u32_e32 v10, vcc, 6, v5
	v_mul_hi_u32_u24_e32 v13, 34, v12
	v_mul_u32_u24_e32 v12, 34, v12
	s_mul_i32 s17, s33, s47
	s_mul_i32 s57, s57, s46
	v_mov_b32_e32 v5, s46
	v_lshrrev_b32_e32 v18, 4, v93
	v_addc_co_u32_e32 v11, vcc, 0, v11, vcc
	s_add_i32 s17, s17, s57
	v_mad_u64_u32 v[12:13], s[22:23], s33, v5, v[12:13]
	v_or_b32_e32 v23, v16, v18
	v_add_u32_e32 v5, s17, v13
	v_mov_b32_e32 v13, s52
	v_add_co_u32_e32 v24, vcc, s51, v12
	v_add_u32_e32 v16, v18, v16
	v_addc_co_u32_e32 v13, vcc, v5, v13, vcc
	v_mul_lo_u32 v18, s38, v16
	v_ashrrev_i32_e32 v25, 31, v18
	v_add_co_u32_e32 v26, vcc, v24, v18
	v_and_b32_e32 v19, 28, v97
	v_addc_co_u32_e32 v27, vcc, v13, v25, vcc
	v_add_co_u32_e32 v13, vcc, v12, v19
	v_addc_co_u32_e32 v19, vcc, 0, v5, vcc
	v_mov_b32_e32 v24, s52
	v_add_co_u32_e32 v28, vcc, s51, v13
	v_addc_co_u32_e32 v24, vcc, v19, v24, vcc
	v_add_co_u32_e32 v28, vcc, v28, v18
	v_add_u32_e32 v18, 2, v16
	v_addc_co_u32_e32 v29, vcc, v24, v25, vcc
	v_mul_lo_u32 v18, s38, v18
	v_ashrrev_i32_e32 v24, 31, v18
	v_add_co_u32_e32 v56, vcc, v12, v18
	v_addc_co_u32_e32 v57, vcc, v5, v24, vcc
	v_add_u32_e32 v25, 4, v16
	v_add_co_u32_e32 v58, vcc, v13, v18
	v_mul_lo_u32 v25, s38, v25
	v_addc_co_u32_e32 v59, vcc, v19, v24, vcc
	v_ashrrev_i32_e32 v30, 31, v25
	v_add_co_u32_e32 v60, vcc, v12, v25
	v_addc_co_u32_e32 v61, vcc, v5, v30, vcc
	v_add_u32_e32 v31, 30, v16
	v_add_co_u32_e32 v62, vcc, v13, v25
	v_mul_lo_u32 v31, s38, v31
	v_addc_co_u32_e32 v63, vcc, v19, v30, vcc
	;; [unrolled: 7-line block ×14, first 2 shown]
	v_ashrrev_i32_e32 v55, 31, v16
	v_add_co_u32_e32 v125, vcc, v13, v16
	v_addc_co_u32_e32 v126, vcc, v19, v55, vcc
	v_mul_lo_u32 v36, v17, s12
	v_add_co_u32_e32 v127, vcc, v12, v16
	v_add_u32_e32 v30, s12, v36
	v_addc_co_u32_e32 v128, vcc, v5, v55, vcc
	v_mov_b32_e32 v5, 0
	v_add_u32_e32 v18, s12, v30
	v_mov_b32_e32 v12, s36
	v_add_u32_e32 v16, s12, v18
	v_mad_u64_u32 v[24:25], s[22:23], s33, v12, v[4:5]
	v_add_u32_e32 v25, s37, v25
	v_lshlrev_b32_e32 v101, 2, v15
	v_ashrrev_i32_e32 v15, 31, v16
	v_add_co_u32_e32 v12, vcc, v24, v16
	v_addc_co_u32_e32 v13, vcc, v25, v15, vcc
	v_lshlrev_b32_e32 v100, 2, v14
	v_mov_b32_e32 v14, s54
	v_add_co_u32_e32 v12, vcc, s53, v12
	v_addc_co_u32_e32 v13, vcc, v14, v13, vcc
	v_mov_b32_e32 v17, s56
	v_add_co_u32_e32 v14, vcc, s55, v16
	v_addc_co_u32_e32 v15, vcc, v17, v15, vcc
	v_ashrrev_i32_e32 v19, 31, v18
	v_add_co_u32_e32 v16, vcc, v24, v18
	v_addc_co_u32_e32 v17, vcc, v25, v19, vcc
	v_lshlrev_b32_e32 v102, 2, v20
	v_mov_b32_e32 v20, s54
	v_add_co_u32_e32 v16, vcc, s53, v16
	v_addc_co_u32_e32 v17, vcc, v20, v17, vcc
	v_mov_b32_e32 v20, s56
	v_add_co_u32_e32 v18, vcc, s55, v18
	v_addc_co_u32_e32 v19, vcc, v20, v19, vcc
	v_lshlrev_b32_e32 v103, 2, v21
	v_mov_b32_e32 v21, s21
	v_add_co_u32_e32 v20, vcc, s20, v26
	v_addc_co_u32_e32 v21, vcc, v21, v27, vcc
	v_lshlrev_b32_e32 v104, 2, v22
	v_lshlrev_b32_e32 v105, 1, v23
	v_mov_b32_e32 v23, s21
	v_add_co_u32_e32 v22, vcc, s20, v28
	v_addc_co_u32_e32 v23, vcc, v23, v29, vcc
	v_mov_b32_e32 v26, s50
	v_add_co_u32_e32 v32, vcc, s13, v24
	v_addc_co_u32_e32 v33, vcc, v25, v26, vcc
	v_ashrrev_i32_e32 v27, 31, v30
	v_add_co_u32_e32 v24, vcc, v24, v30
	v_addc_co_u32_e32 v25, vcc, v25, v27, vcc
	s_mov_b32 s45, s43
	v_mov_b32_e32 v26, s54
	v_add_co_u32_e32 v24, vcc, s53, v24
	s_lshl_b64 s[22:23], s[44:45], 1
	v_addc_co_u32_e32 v25, vcc, v26, v25, vcc
	s_mul_i32 s36, s16, s12
	s_mul_i32 s39, s44, s12
	v_mov_b32_e32 v28, s56
	v_add_co_u32_e32 v26, vcc, s55, v30
	s_add_u32 s12, s20, s51
	v_addc_co_u32_e32 v27, vcc, v28, v27, vcc
	s_addc_u32 s20, s21, s52
	v_mov_b32_e32 v29, s20
	v_add_co_u32_e32 v28, vcc, s12, v56
	v_addc_co_u32_e32 v29, vcc, v29, v57, vcc
	v_mov_b32_e32 v31, s20
	v_add_co_u32_e32 v30, vcc, s12, v58
	v_addc_co_u32_e32 v31, vcc, v31, v59, vcc
	v_ashrrev_i32_e32 v37, 31, v36
	v_add_co_u32_e32 v32, vcc, v32, v36
	v_addc_co_u32_e32 v33, vcc, v33, v37, vcc
	v_mov_b32_e32 v34, s19
	v_add_co_u32_e32 v32, vcc, s18, v32
	s_add_u32 s13, s48, s13
	v_addc_co_u32_e32 v33, vcc, v34, v33, vcc
	s_addc_u32 s21, s49, s50
	v_mov_b32_e32 v35, s20
	v_add_co_u32_e32 v34, vcc, s12, v60
	s_add_u32 s13, s18, s13
	v_addc_co_u32_e32 v35, vcc, v35, v61, vcc
	s_addc_u32 s18, s19, s21
	v_mov_b32_e32 v38, s18
	v_add_co_u32_e32 v36, vcc, s13, v36
	v_addc_co_u32_e32 v37, vcc, v38, v37, vcc
	v_mov_b32_e32 v39, s20
	v_add_co_u32_e32 v38, vcc, s12, v62
	v_addc_co_u32_e32 v39, vcc, v39, v63, vcc
	;; [unrolled: 3-line block ×27, first 2 shown]
	v_mov_b32_e32 v91, s20
	v_add_co_u32_e32 v90, vcc, s12, v127
	s_mul_i32 s17, s16, s38
	s_mov_b32 s37, s43
	s_mov_b32 s46, s43
	s_mul_i32 s38, s44, s38
	s_mov_b32 s47, s43
	v_addc_co_u32_e32 v91, vcc, v91, v128, vcc
	s_mov_b32 s18, 0x1000706
	s_mov_b32 s19, 0x3fb8aa3b
	;; [unrolled: 1-line block ×4, first 2 shown]
	v_add_f32_e32 v1, v1, v1
	v_or_b32_e32 v106, 16, v4
	v_add_f32_e32 v3, v3, v3
	v_mov_b32_e32 v110, 0xfeffffff
	v_mov_b32_e32 v107, 0x7f800000
	;; [unrolled: 1-line block ×4, first 2 shown]
                                        ; implicit-def: $vgpr108
.LBB0_19:                               ; =>This Inner Loop Header: Depth=1
	v_add_co_u32_e32 v112, vcc, s36, v36
	v_mov_b32_e32 v111, s37
	v_addc_co_u32_e32 v113, vcc, v37, v111, vcc
	v_add_co_u32_e32 v114, vcc, s36, v32
	v_addc_co_u32_e32 v115, vcc, v33, v111, vcc
	global_load_dword v111, v[114:115], off offset:6
	global_load_dword v116, v[112:113], off
	global_load_ushort v117, v[112:113], off offset:4
	s_and_b64 vcc, exec, s[26:27]
	s_waitcnt vmcnt(2)
	v_and_b32_e32 v120, 0xf0f0f0f, v111
	v_lshrrev_b32_e32 v111, 4, v111
	s_waitcnt vmcnt(0)
	v_perm_b32 v117, v116, v117, s18
	v_ashrrev_i32_e32 v118, v4, v117
	v_lshlrev_b32_e32 v119, 4, v118
	v_lshlrev_b32_e32 v121, 11, v118
	v_lshlrev_b32_e32 v122, 18, v118
	v_lshlrev_b32_e32 v118, 25, v118
	v_and_b32_e32 v122, 0x100000, v122
	v_and_b32_e32 v118, 0x10000000, v118
	v_and_b32_e32 v119, 16, v119
	v_and_b32_e32 v121, 0x1000, v121
	v_or3_b32 v118, v118, v120, v122
	v_or3_b32 v118, v118, v119, v121
	v_mov_b32_e32 v119, 0
	v_dot4c_i32_i8_e32 v119, v118, v6
	v_ashrrev_i32_e32 v117, v106, v117
	v_lshlrev_b32_e32 v120, 11, v117
	v_lshlrev_b32_e32 v121, 18, v117
	v_cvt_f32_i32_e32 v118, v119
	v_lshlrev_b32_e32 v119, 4, v117
	v_lshlrev_b32_e32 v117, 25, v117
	v_and_b32_e32 v111, 0xf0f0f0f, v111
	v_and_b32_e32 v121, 0x100000, v121
	;; [unrolled: 1-line block ×5, first 2 shown]
	v_or3_b32 v111, v117, v111, v121
	v_or3_b32 v111, v111, v119, v120
	v_mov_b32_e32 v117, 0
	v_dot4c_i32_i8_e32 v117, v111, v7
	v_fma_f32 v118, v0, v118, -v1
	v_fma_mix_f32 v118, v118, v116, 0 op_sel_hi:[0,1,0]
	s_nop 0
	v_cvt_f32_i32_e32 v111, v117
	v_fma_f32 v111, v0, v111, -v1
	v_fma_mix_f32 v111, v111, v116, v118 op_sel_hi:[0,1,0]
	global_load_dword v116, v[114:115], off offset:28
	global_load_dword v117, v[112:113], off offset:22
	global_load_ushort v118, v[112:113], off offset:26
	s_waitcnt vmcnt(2)
	v_and_b32_e32 v115, 0xf0f0f0f, v116
	s_waitcnt vmcnt(0)
	v_perm_b32 v112, v117, v118, s18
	v_ashrrev_i32_e32 v113, v4, v112
	v_lshlrev_b32_e32 v114, 4, v113
	v_lshlrev_b32_e32 v118, 11, v113
	;; [unrolled: 1-line block ×4, first 2 shown]
	v_and_b32_e32 v119, 0x100000, v119
	v_and_b32_e32 v113, 0x10000000, v113
	;; [unrolled: 1-line block ×4, first 2 shown]
	v_or3_b32 v113, v113, v115, v119
	v_or3_b32 v113, v113, v114, v118
	v_mov_b32_e32 v114, 0
	v_dot4c_i32_i8_e32 v114, v113, v8
	v_ashrrev_i32_e32 v112, v106, v112
	v_lshlrev_b32_e32 v115, 11, v112
	v_and_b32_e32 v115, 0x1000, v115
	v_cvt_f32_i32_e32 v113, v114
	v_lshlrev_b32_e32 v114, 4, v112
	v_and_b32_e32 v114, 16, v114
	v_fma_f32 v113, v2, v113, -v3
	v_fma_mix_f32 v111, v113, v117, v111 op_sel_hi:[0,1,0]
	v_lshrrev_b32_e32 v113, 4, v116
	v_lshlrev_b32_e32 v116, 18, v112
	v_lshlrev_b32_e32 v112, 25, v112
	v_and_b32_e32 v113, 0xf0f0f0f, v113
	v_and_b32_e32 v116, 0x100000, v116
	;; [unrolled: 1-line block ×3, first 2 shown]
	v_or3_b32 v112, v112, v113, v116
	v_or3_b32 v112, v112, v114, v115
	v_mov_b32_e32 v113, 0
	v_dot4c_i32_i8_e32 v113, v112, v9
	s_nop 2
	v_cvt_f32_i32_e32 v112, v113
	v_fma_f32 v112, v2, v112, -v3
	v_fma_mix_f32 v111, v112, v117, v111 op_sel_hi:[0,1,0]
	ds_bpermute_b32 v112, v100, v111
	s_waitcnt lgkmcnt(0)
	v_add_f32_e32 v111, v111, v112
	ds_bpermute_b32 v112, v101, v111
	s_waitcnt lgkmcnt(0)
	v_add_f32_e32 v111, v111, v112
	s_cbranch_vccz .LBB0_21
; %bb.20:                               ;   in Loop: Header=BB0_19 Depth=1
	global_load_ushort v112, v[10:11], off offset:-6
	s_waitcnt vmcnt(0)
	v_fma_mix_f32 v111, v95, v112, v111 op_sel_hi:[0,1,0]
.LBB0_21:                               ;   in Loop: Header=BB0_19 Depth=1
	v_add_co_u32_e32 v112, vcc, s36, v26
	v_mov_b32_e32 v115, s37
	v_addc_co_u32_e32 v113, vcc, v27, v115, vcc
	v_add_co_u32_e32 v114, vcc, s36, v24
	v_addc_co_u32_e32 v115, vcc, v25, v115, vcc
	global_load_dword v116, v[114:115], off offset:6
	global_load_dword v117, v[112:113], off
	global_load_ushort v118, v[112:113], off offset:4
	s_andn2_b64 vcc, exec, s[26:27]
	s_waitcnt vmcnt(2)
	v_and_b32_e32 v121, 0xf0f0f0f, v116
	v_lshrrev_b32_e32 v116, 4, v116
	s_waitcnt vmcnt(0)
	v_perm_b32 v118, v117, v118, s18
	v_ashrrev_i32_e32 v119, v4, v118
	v_lshlrev_b32_e32 v120, 4, v119
	v_lshlrev_b32_e32 v122, 11, v119
	;; [unrolled: 1-line block ×4, first 2 shown]
	v_and_b32_e32 v123, 0x100000, v123
	v_and_b32_e32 v119, 0x10000000, v119
	v_and_b32_e32 v120, 16, v120
	v_and_b32_e32 v122, 0x1000, v122
	v_or3_b32 v119, v119, v121, v123
	v_or3_b32 v119, v119, v120, v122
	v_mov_b32_e32 v120, 0
	v_dot4c_i32_i8_e32 v120, v119, v6
	v_ashrrev_i32_e32 v118, v106, v118
	v_lshlrev_b32_e32 v121, 11, v118
	v_lshlrev_b32_e32 v122, 18, v118
	v_cvt_f32_i32_e32 v119, v120
	v_lshlrev_b32_e32 v120, 4, v118
	v_lshlrev_b32_e32 v118, 25, v118
	v_and_b32_e32 v116, 0xf0f0f0f, v116
	v_and_b32_e32 v122, 0x100000, v122
	v_and_b32_e32 v118, 0x10000000, v118
	v_and_b32_e32 v120, 16, v120
	v_and_b32_e32 v121, 0x1000, v121
	v_or3_b32 v116, v118, v116, v122
	v_or3_b32 v116, v116, v120, v121
	v_mov_b32_e32 v118, 0
	v_dot4c_i32_i8_e32 v118, v116, v7
	v_fma_f32 v119, v0, v119, -v1
	v_fma_mix_f32 v119, v119, v117, 0 op_sel_hi:[0,1,0]
	s_nop 0
	v_cvt_f32_i32_e32 v116, v118
	v_fma_f32 v116, v0, v116, -v1
	v_fma_mix_f32 v116, v116, v117, v119 op_sel_hi:[0,1,0]
	global_load_dword v117, v[114:115], off offset:28
	global_load_dword v118, v[112:113], off offset:22
	global_load_ushort v119, v[112:113], off offset:26
	s_waitcnt vmcnt(2)
	v_and_b32_e32 v115, 0xf0f0f0f, v117
	s_waitcnt vmcnt(0)
	v_perm_b32 v112, v118, v119, s18
	v_ashrrev_i32_e32 v113, v4, v112
	v_lshlrev_b32_e32 v114, 4, v113
	v_lshlrev_b32_e32 v119, 11, v113
	;; [unrolled: 1-line block ×4, first 2 shown]
	v_and_b32_e32 v120, 0x100000, v120
	v_and_b32_e32 v113, 0x10000000, v113
	;; [unrolled: 1-line block ×4, first 2 shown]
	v_or3_b32 v113, v113, v115, v120
	v_or3_b32 v113, v113, v114, v119
	v_mov_b32_e32 v114, 0
	v_dot4c_i32_i8_e32 v114, v113, v8
	v_ashrrev_i32_e32 v112, v106, v112
	v_lshlrev_b32_e32 v115, 4, v112
	v_and_b32_e32 v115, 16, v115
	v_cvt_f32_i32_e32 v113, v114
	v_lshrrev_b32_e32 v114, 4, v117
	v_lshlrev_b32_e32 v117, 18, v112
	v_and_b32_e32 v114, 0xf0f0f0f, v114
	v_fma_f32 v113, v2, v113, -v3
	v_fma_mix_f32 v113, v113, v118, v116 op_sel_hi:[0,1,0]
	v_lshlrev_b32_e32 v116, 11, v112
	v_lshlrev_b32_e32 v112, 25, v112
	v_and_b32_e32 v117, 0x100000, v117
	v_and_b32_e32 v112, 0x10000000, v112
	;; [unrolled: 1-line block ×3, first 2 shown]
	v_or3_b32 v112, v112, v114, v117
	v_or3_b32 v112, v112, v115, v116
	v_mov_b32_e32 v114, 0
	v_dot4c_i32_i8_e32 v114, v112, v9
	s_nop 2
	v_cvt_f32_i32_e32 v112, v114
	v_fma_f32 v112, v2, v112, -v3
	v_fma_mix_f32 v112, v112, v118, v113 op_sel_hi:[0,1,0]
	ds_bpermute_b32 v113, v100, v112
	s_waitcnt lgkmcnt(0)
	v_add_f32_e32 v112, v112, v113
	ds_bpermute_b32 v113, v101, v112
	s_waitcnt lgkmcnt(0)
	v_add_f32_e32 v112, v112, v113
	v_cndmask_b32_e64 v113, 0, 1, s[26:27]
	v_cmp_ne_u32_e64 s[12:13], 1, v113
	s_cbranch_vccnz .LBB0_23
; %bb.22:                               ;   in Loop: Header=BB0_19 Depth=1
	global_load_ushort v113, v[10:11], off offset:-4
	s_waitcnt vmcnt(0)
	v_fma_mix_f32 v112, v95, v113, v112 op_sel_hi:[0,1,0]
.LBB0_23:                               ;   in Loop: Header=BB0_19 Depth=1
	v_add_co_u32_e32 v114, vcc, s36, v18
	v_mov_b32_e32 v113, s37
	v_addc_co_u32_e32 v115, vcc, v19, v113, vcc
	v_add_co_u32_e32 v116, vcc, s36, v16
	v_addc_co_u32_e32 v117, vcc, v17, v113, vcc
	global_load_dword v113, v[116:117], off offset:6
	global_load_dword v118, v[114:115], off
	global_load_ushort v119, v[114:115], off offset:4
	s_and_b64 vcc, exec, s[12:13]
	s_waitcnt vmcnt(2)
	v_and_b32_e32 v122, 0xf0f0f0f, v113
	v_lshrrev_b32_e32 v113, 4, v113
	s_waitcnt vmcnt(0)
	v_perm_b32 v119, v118, v119, s18
	v_ashrrev_i32_e32 v120, v4, v119
	v_lshlrev_b32_e32 v121, 4, v120
	v_lshlrev_b32_e32 v123, 11, v120
	;; [unrolled: 1-line block ×4, first 2 shown]
	v_and_b32_e32 v124, 0x100000, v124
	v_and_b32_e32 v120, 0x10000000, v120
	;; [unrolled: 1-line block ×4, first 2 shown]
	v_or3_b32 v120, v120, v122, v124
	v_or3_b32 v120, v120, v121, v123
	v_mov_b32_e32 v121, 0
	v_dot4c_i32_i8_e32 v121, v120, v6
	v_ashrrev_i32_e32 v119, v106, v119
	v_lshlrev_b32_e32 v122, 11, v119
	v_lshlrev_b32_e32 v123, 18, v119
	v_cvt_f32_i32_e32 v120, v121
	v_lshlrev_b32_e32 v121, 4, v119
	v_lshlrev_b32_e32 v119, 25, v119
	v_and_b32_e32 v113, 0xf0f0f0f, v113
	v_and_b32_e32 v123, 0x100000, v123
	;; [unrolled: 1-line block ×5, first 2 shown]
	v_or3_b32 v113, v119, v113, v123
	v_or3_b32 v113, v113, v121, v122
	v_mov_b32_e32 v119, 0
	v_dot4c_i32_i8_e32 v119, v113, v7
	v_fma_f32 v120, v0, v120, -v1
	v_fma_mix_f32 v120, v120, v118, 0 op_sel_hi:[0,1,0]
	s_nop 0
	v_cvt_f32_i32_e32 v113, v119
	v_fma_f32 v113, v0, v113, -v1
	v_fma_mix_f32 v113, v113, v118, v120 op_sel_hi:[0,1,0]
	global_load_dword v118, v[116:117], off offset:28
	global_load_dword v119, v[114:115], off offset:22
	global_load_ushort v120, v[114:115], off offset:26
	s_waitcnt vmcnt(2)
	v_and_b32_e32 v117, 0xf0f0f0f, v118
	s_waitcnt vmcnt(0)
	v_perm_b32 v114, v119, v120, s18
	v_ashrrev_i32_e32 v115, v4, v114
	v_lshlrev_b32_e32 v116, 4, v115
	v_lshlrev_b32_e32 v120, 11, v115
	;; [unrolled: 1-line block ×4, first 2 shown]
	v_and_b32_e32 v121, 0x100000, v121
	v_and_b32_e32 v115, 0x10000000, v115
	;; [unrolled: 1-line block ×4, first 2 shown]
	v_or3_b32 v115, v115, v117, v121
	v_or3_b32 v115, v115, v116, v120
	v_mov_b32_e32 v116, 0
	v_dot4c_i32_i8_e32 v116, v115, v8
	v_ashrrev_i32_e32 v114, v106, v114
	v_lshlrev_b32_e32 v117, 11, v114
	v_and_b32_e32 v117, 0x1000, v117
	v_cvt_f32_i32_e32 v115, v116
	v_lshlrev_b32_e32 v116, 4, v114
	v_and_b32_e32 v116, 16, v116
	v_fma_f32 v115, v2, v115, -v3
	v_fma_mix_f32 v113, v115, v119, v113 op_sel_hi:[0,1,0]
	v_lshrrev_b32_e32 v115, 4, v118
	v_lshlrev_b32_e32 v118, 18, v114
	v_lshlrev_b32_e32 v114, 25, v114
	v_and_b32_e32 v115, 0xf0f0f0f, v115
	v_and_b32_e32 v118, 0x100000, v118
	;; [unrolled: 1-line block ×3, first 2 shown]
	v_or3_b32 v114, v114, v115, v118
	v_or3_b32 v114, v114, v116, v117
	v_mov_b32_e32 v115, 0
	v_dot4c_i32_i8_e32 v115, v114, v9
	s_nop 2
	v_cvt_f32_i32_e32 v114, v115
	v_fma_f32 v114, v2, v114, -v3
	v_fma_mix_f32 v113, v114, v119, v113 op_sel_hi:[0,1,0]
	ds_bpermute_b32 v114, v100, v113
	s_waitcnt lgkmcnt(0)
	v_add_f32_e32 v113, v113, v114
	ds_bpermute_b32 v114, v101, v113
	s_waitcnt lgkmcnt(0)
	v_add_f32_e32 v113, v113, v114
	s_cbranch_vccnz .LBB0_25
; %bb.24:                               ;   in Loop: Header=BB0_19 Depth=1
	global_load_ushort v114, v[10:11], off offset:-2
	s_waitcnt vmcnt(0)
	v_fma_mix_f32 v113, v95, v114, v113 op_sel_hi:[0,1,0]
.LBB0_25:                               ;   in Loop: Header=BB0_19 Depth=1
	v_add_co_u32_e32 v114, vcc, s36, v14
	v_mov_b32_e32 v117, s37
	v_addc_co_u32_e32 v115, vcc, v15, v117, vcc
	v_add_co_u32_e32 v116, vcc, s36, v12
	v_addc_co_u32_e32 v117, vcc, v13, v117, vcc
	global_load_dword v118, v[116:117], off offset:6
	global_load_dword v119, v[114:115], off
	global_load_ushort v120, v[114:115], off offset:4
	s_and_b64 vcc, exec, s[12:13]
	s_waitcnt vmcnt(2)
	v_and_b32_e32 v123, 0xf0f0f0f, v118
	v_lshrrev_b32_e32 v118, 4, v118
	s_waitcnt vmcnt(0)
	v_perm_b32 v120, v119, v120, s18
	v_ashrrev_i32_e32 v121, v4, v120
	v_lshlrev_b32_e32 v122, 4, v121
	v_lshlrev_b32_e32 v124, 11, v121
	;; [unrolled: 1-line block ×4, first 2 shown]
	v_and_b32_e32 v125, 0x100000, v125
	v_and_b32_e32 v121, 0x10000000, v121
	;; [unrolled: 1-line block ×4, first 2 shown]
	v_or3_b32 v121, v121, v123, v125
	v_or3_b32 v121, v121, v122, v124
	v_mov_b32_e32 v122, 0
	v_dot4c_i32_i8_e32 v122, v121, v6
	v_ashrrev_i32_e32 v120, v106, v120
	v_lshlrev_b32_e32 v123, 11, v120
	v_lshlrev_b32_e32 v124, 18, v120
	v_cvt_f32_i32_e32 v121, v122
	v_lshlrev_b32_e32 v122, 4, v120
	v_lshlrev_b32_e32 v120, 25, v120
	v_and_b32_e32 v118, 0xf0f0f0f, v118
	v_and_b32_e32 v124, 0x100000, v124
	;; [unrolled: 1-line block ×5, first 2 shown]
	v_or3_b32 v118, v120, v118, v124
	v_or3_b32 v118, v118, v122, v123
	v_mov_b32_e32 v120, 0
	v_dot4c_i32_i8_e32 v120, v118, v7
	v_fma_f32 v121, v0, v121, -v1
	v_fma_mix_f32 v121, v121, v119, 0 op_sel_hi:[0,1,0]
	s_nop 0
	v_cvt_f32_i32_e32 v118, v120
	v_fma_f32 v118, v0, v118, -v1
	v_fma_mix_f32 v118, v118, v119, v121 op_sel_hi:[0,1,0]
	global_load_dword v119, v[116:117], off offset:28
	global_load_dword v120, v[114:115], off offset:22
	global_load_ushort v121, v[114:115], off offset:26
	s_waitcnt vmcnt(2)
	v_and_b32_e32 v117, 0xf0f0f0f, v119
	s_waitcnt vmcnt(0)
	v_perm_b32 v114, v120, v121, s18
	v_ashrrev_i32_e32 v115, v4, v114
	v_lshlrev_b32_e32 v116, 4, v115
	v_lshlrev_b32_e32 v121, 11, v115
	;; [unrolled: 1-line block ×4, first 2 shown]
	v_and_b32_e32 v122, 0x100000, v122
	v_and_b32_e32 v115, 0x10000000, v115
	;; [unrolled: 1-line block ×4, first 2 shown]
	v_or3_b32 v115, v115, v117, v122
	v_or3_b32 v115, v115, v116, v121
	v_mov_b32_e32 v116, 0
	v_dot4c_i32_i8_e32 v116, v115, v8
	v_ashrrev_i32_e32 v114, v106, v114
	v_lshlrev_b32_e32 v117, 4, v114
	v_and_b32_e32 v117, 16, v117
	v_cvt_f32_i32_e32 v115, v116
	v_lshrrev_b32_e32 v116, 4, v119
	v_lshlrev_b32_e32 v119, 18, v114
	v_and_b32_e32 v116, 0xf0f0f0f, v116
	v_fma_f32 v115, v2, v115, -v3
	v_fma_mix_f32 v115, v115, v120, v118 op_sel_hi:[0,1,0]
	v_lshlrev_b32_e32 v118, 11, v114
	v_lshlrev_b32_e32 v114, 25, v114
	v_and_b32_e32 v119, 0x100000, v119
	v_and_b32_e32 v114, 0x10000000, v114
	;; [unrolled: 1-line block ×3, first 2 shown]
	v_or3_b32 v114, v114, v116, v119
	v_or3_b32 v114, v114, v117, v118
	v_mov_b32_e32 v116, 0
	v_dot4c_i32_i8_e32 v116, v114, v9
	s_nop 2
	v_cvt_f32_i32_e32 v114, v116
	v_fma_f32 v114, v2, v114, -v3
	v_fma_mix_f32 v114, v114, v120, v115 op_sel_hi:[0,1,0]
	ds_bpermute_b32 v115, v100, v114
	s_waitcnt lgkmcnt(0)
	v_add_f32_e32 v114, v114, v115
	ds_bpermute_b32 v115, v101, v114
	s_waitcnt lgkmcnt(0)
	v_add_f32_e32 v114, v114, v115
	s_cbranch_vccnz .LBB0_27
; %bb.26:                               ;   in Loop: Header=BB0_19 Depth=1
	global_load_ushort v115, v[10:11], off
	s_waitcnt vmcnt(0)
	v_fma_mix_f32 v114, v95, v115, v114 op_sel_hi:[0,1,0]
.LBB0_27:                               ;   in Loop: Header=BB0_19 Depth=1
	v_add_f32_e32 v115, 0x40051340, v111
	v_add_f32_e32 v116, 0x40051340, v112
	v_max3_f32 v115, v110, v115, v116
	v_add_f32_e32 v116, 0x40051340, v113
	v_add_f32_e32 v117, 0x40051340, v114
	v_max3_f32 v115, v115, v116, v117
	v_mov_b32_e32 v118, s43
	v_add_co_u32_e32 v116, vcc, s17, v22
	v_addc_co_u32_e32 v117, vcc, v23, v118, vcc
	global_load_dword v119, v[116:117], off offset:2
	v_add_co_u32_e32 v116, vcc, s17, v20
	v_addc_co_u32_e32 v117, vcc, v21, v118, vcc
	v_cndmask_b32_e64 v108, v108, v111, s[14:15]
	global_load_ushort v116, v[116:117], off
	v_cndmask_b32_e64 v108, v108, v112, s[8:9]
	v_add_co_u32_e32 v112, vcc, s17, v30
	v_cndmask_b32_e64 v108, v108, v113, s[10:11]
	v_addc_co_u32_e32 v113, vcc, v31, v118, vcc
	v_cndmask_b32_e64 v108, v108, v114, s[2:3]
	global_load_dword v114, v[112:113], off offset:2
	v_add_co_u32_e32 v112, vcc, s17, v28
	v_addc_co_u32_e32 v113, vcc, v29, v118, vcc
	global_load_ushort v112, v[112:113], off
	ds_bpermute_b32 v111, v102, v115
	s_add_i32 s16, s16, s44
	s_cmp_ge_i32 s16, s42
	s_waitcnt lgkmcnt(0)
	v_max_f32_e32 v111, v111, v111
	v_max_f32_e32 v111, v115, v111
	ds_bpermute_b32 v113, v103, v111
	s_waitcnt lgkmcnt(0)
	v_max_f32_e32 v113, v113, v113
	v_max_f32_e32 v111, v111, v113
	ds_bpermute_b32 v113, v104, v111
	s_waitcnt lgkmcnt(0)
	v_max_f32_e32 v113, v113, v113
	v_max_f32_e32 v111, v111, v113
	v_sub_f32_e32 v110, v110, v111
	v_mul_f32_e32 v113, 0x3fb8aa3b, v110
	v_fma_f32 v115, v110, s19, -v113
	v_rndne_f32_e32 v117, v113
	v_fmac_f32_e32 v115, 0x32a5705f, v110
	v_sub_f32_e32 v113, v113, v117
	v_add_f32_e32 v113, v113, v115
	v_sub_f32_e32 v108, v108, v111
	v_mul_f32_e32 v115, 0x3fb8aa3b, v108
	v_cvt_i32_f32_e32 v117, v117
	v_exp_f32_e32 v113, v113
	v_fma_f32 v120, v108, s19, -v115
	v_rndne_f32_e32 v121, v115
	v_fmac_f32_e32 v120, 0x32a5705f, v108
	v_sub_f32_e32 v115, v115, v121
	v_add_f32_e32 v115, v115, v120
	v_ldexp_f32 v113, v113, v117
	v_cvt_i32_f32_e32 v117, v121
	v_exp_f32_e32 v115, v115
	v_cmp_ngt_f32_e32 vcc, s20, v108
	v_ldexp_f32 v115, v115, v117
	v_cndmask_b32_e32 v115, 0, v115, vcc
	v_cmp_nlt_f32_e32 vcc, s21, v108
	v_cndmask_b32_e32 v108, v107, v115, vcc
	v_cvt_f16_f32_e32 v115, v108
	v_cmp_ngt_f32_e32 vcc, s20, v110
	v_cndmask_b32_e32 v113, 0, v113, vcc
	v_cmp_nlt_f32_e32 vcc, s21, v110
	ds_write_b16 v96, v115
	v_cndmask_b32_e32 v110, v107, v113, vcc
	v_cvt_f16_f32_e32 v113, v110
	v_fma_f32 v99, v99, v110, v108
	v_mov_b32_e32 v110, s23
	s_waitcnt vmcnt(3)
	v_cvt_f16_i16_sdwa v115, sext(v119) dst_sel:DWORD dst_unused:UNUSED_PAD src0_sel:BYTE_0
	v_cvt_f16_i16_sdwa v117, sext(v119) dst_sel:DWORD dst_unused:UNUSED_PAD src0_sel:BYTE_1
	v_pack_b32_f16 v115, v115, v117
	v_lshrrev_b32_e32 v117, 16, v119
	v_cvt_f16_i16_sdwa v119, sext(v117) dst_sel:DWORD dst_unused:UNUSED_PAD src0_sel:BYTE_0
	v_cvt_f16_i16_sdwa v117, sext(v117) dst_sel:DWORD dst_unused:UNUSED_PAD src0_sel:BYTE_1
	v_pack_b32_f16 v117, v119, v117
	s_waitcnt vmcnt(2)
	v_pk_mul_f16 v115, v115, v116 op_sel_hi:[1,0]
	v_pk_mul_f16 v116, v116, v117 op_sel_hi:[0,1]
	ds_read_u16 v117, v105
	ds_read_u16 v119, v105 offset:4
	ds_read_u16 v120, v105 offset:8
	;; [unrolled: 1-line block ×7, first 2 shown]
	s_waitcnt lgkmcnt(7)
	v_pk_mul_f16 v115, v117, v115 op_sel_hi:[0,1]
	v_pk_mul_f16 v116, v117, v116 op_sel_hi:[0,1]
	v_pk_fma_f16 v109, v113, v109, v116 op_sel_hi:[0,1,1]
	v_pk_fma_f16 v5, v113, v5, v115 op_sel_hi:[0,1,1]
	s_waitcnt vmcnt(1)
	v_cvt_f16_i16_sdwa v113, sext(v114) dst_sel:DWORD dst_unused:UNUSED_PAD src0_sel:BYTE_0
	v_cvt_f16_i16_sdwa v115, sext(v114) dst_sel:DWORD dst_unused:UNUSED_PAD src0_sel:BYTE_1
	v_lshrrev_b32_e32 v114, 16, v114
	v_pack_b32_f16 v113, v113, v115
	v_cvt_f16_i16_sdwa v115, sext(v114) dst_sel:DWORD dst_unused:UNUSED_PAD src0_sel:BYTE_0
	v_cvt_f16_i16_sdwa v114, sext(v114) dst_sel:DWORD dst_unused:UNUSED_PAD src0_sel:BYTE_1
	v_pack_b32_f16 v114, v115, v114
	s_waitcnt vmcnt(0)
	v_pk_mul_f16 v113, v113, v112 op_sel_hi:[1,0]
	v_pk_mul_f16 v112, v112, v114 op_sel_hi:[0,1]
	s_waitcnt lgkmcnt(6)
	v_pk_fma_f16 v109, v119, v112, v109 op_sel_hi:[0,1,1]
	v_add_co_u32_e32 v112, vcc, s17, v38
	v_pk_fma_f16 v5, v119, v113, v5 op_sel_hi:[0,1,1]
	v_addc_co_u32_e32 v113, vcc, v39, v118, vcc
	global_load_dword v114, v[112:113], off offset:2
	v_add_co_u32_e32 v112, vcc, s17, v34
	v_addc_co_u32_e32 v113, vcc, v35, v118, vcc
	global_load_ushort v112, v[112:113], off
	s_waitcnt vmcnt(1)
	v_cvt_f16_i16_sdwa v113, sext(v114) dst_sel:DWORD dst_unused:UNUSED_PAD src0_sel:BYTE_0
	v_cvt_f16_i16_sdwa v115, sext(v114) dst_sel:DWORD dst_unused:UNUSED_PAD src0_sel:BYTE_1
	v_lshrrev_b32_e32 v114, 16, v114
	v_pack_b32_f16 v113, v113, v115
	v_cvt_f16_i16_sdwa v115, sext(v114) dst_sel:DWORD dst_unused:UNUSED_PAD src0_sel:BYTE_0
	v_cvt_f16_i16_sdwa v114, sext(v114) dst_sel:DWORD dst_unused:UNUSED_PAD src0_sel:BYTE_1
	v_pack_b32_f16 v114, v115, v114
	s_waitcnt vmcnt(0)
	v_pk_mul_f16 v113, v113, v112 op_sel_hi:[1,0]
	v_pk_mul_f16 v112, v112, v114 op_sel_hi:[0,1]
	s_waitcnt lgkmcnt(5)
	v_pk_fma_f16 v109, v120, v112, v109 op_sel_hi:[0,1,1]
	v_add_co_u32_e32 v112, vcc, s17, v88
	v_pk_fma_f16 v5, v120, v113, v5 op_sel_hi:[0,1,1]
	v_addc_co_u32_e32 v113, vcc, v89, v118, vcc
	global_load_dword v114, v[112:113], off offset:2
	v_add_co_u32_e32 v112, vcc, s17, v90
	v_addc_co_u32_e32 v113, vcc, v91, v118, vcc
	global_load_ushort v112, v[112:113], off
	;; [unrolled: 20-line block ×7, first 2 shown]
	s_waitcnt vmcnt(1)
	v_cvt_f16_i16_sdwa v113, sext(v114) dst_sel:DWORD dst_unused:UNUSED_PAD src0_sel:BYTE_0
	v_cvt_f16_i16_sdwa v115, sext(v114) dst_sel:DWORD dst_unused:UNUSED_PAD src0_sel:BYTE_1
	v_lshrrev_b32_e32 v114, 16, v114
	v_pack_b32_f16 v113, v113, v115
	v_cvt_f16_i16_sdwa v115, sext(v114) dst_sel:DWORD dst_unused:UNUSED_PAD src0_sel:BYTE_0
	v_cvt_f16_i16_sdwa v114, sext(v114) dst_sel:DWORD dst_unused:UNUSED_PAD src0_sel:BYTE_1
	v_pack_b32_f16 v114, v115, v114
	s_waitcnt vmcnt(0)
	v_pk_mul_f16 v113, v113, v112 op_sel_hi:[1,0]
	v_pk_mul_f16 v112, v112, v114 op_sel_hi:[0,1]
	ds_read_u16 v114, v105 offset:32
	ds_read_u16 v115, v105 offset:36
	;; [unrolled: 1-line block ×8, first 2 shown]
	s_waitcnt lgkmcnt(7)
	v_pk_fma_f16 v109, v114, v112, v109 op_sel_hi:[0,1,1]
	v_add_co_u32_e32 v112, vcc, s17, v64
	v_pk_fma_f16 v5, v114, v113, v5 op_sel_hi:[0,1,1]
	v_addc_co_u32_e32 v113, vcc, v65, v118, vcc
	global_load_dword v114, v[112:113], off offset:2
	v_add_co_u32_e32 v112, vcc, s17, v66
	v_addc_co_u32_e32 v113, vcc, v67, v118, vcc
	global_load_ushort v112, v[112:113], off
	s_waitcnt vmcnt(1)
	v_cvt_f16_i16_sdwa v113, sext(v114) dst_sel:DWORD dst_unused:UNUSED_PAD src0_sel:BYTE_0
	v_cvt_f16_i16_sdwa v123, sext(v114) dst_sel:DWORD dst_unused:UNUSED_PAD src0_sel:BYTE_1
	v_lshrrev_b32_e32 v114, 16, v114
	v_pack_b32_f16 v113, v113, v123
	v_cvt_f16_i16_sdwa v123, sext(v114) dst_sel:DWORD dst_unused:UNUSED_PAD src0_sel:BYTE_0
	v_cvt_f16_i16_sdwa v114, sext(v114) dst_sel:DWORD dst_unused:UNUSED_PAD src0_sel:BYTE_1
	v_pack_b32_f16 v114, v123, v114
	s_waitcnt vmcnt(0)
	v_pk_mul_f16 v113, v113, v112 op_sel_hi:[1,0]
	v_pk_mul_f16 v112, v112, v114 op_sel_hi:[0,1]
	s_waitcnt lgkmcnt(6)
	v_pk_fma_f16 v109, v115, v112, v109 op_sel_hi:[0,1,1]
	v_add_co_u32_e32 v112, vcc, s17, v60
	v_pk_fma_f16 v5, v115, v113, v5 op_sel_hi:[0,1,1]
	v_addc_co_u32_e32 v113, vcc, v61, v118, vcc
	global_load_dword v114, v[112:113], off offset:2
	v_add_co_u32_e32 v112, vcc, s17, v62
	v_addc_co_u32_e32 v113, vcc, v63, v118, vcc
	global_load_ushort v112, v[112:113], off
	s_waitcnt vmcnt(1)
	v_cvt_f16_i16_sdwa v113, sext(v114) dst_sel:DWORD dst_unused:UNUSED_PAD src0_sel:BYTE_0
	v_cvt_f16_i16_sdwa v115, sext(v114) dst_sel:DWORD dst_unused:UNUSED_PAD src0_sel:BYTE_1
	v_lshrrev_b32_e32 v114, 16, v114
	v_pack_b32_f16 v113, v113, v115
	v_cvt_f16_i16_sdwa v115, sext(v114) dst_sel:DWORD dst_unused:UNUSED_PAD src0_sel:BYTE_0
	v_cvt_f16_i16_sdwa v114, sext(v114) dst_sel:DWORD dst_unused:UNUSED_PAD src0_sel:BYTE_1
	v_pack_b32_f16 v114, v115, v114
	s_waitcnt vmcnt(0)
	v_pk_mul_f16 v113, v113, v112 op_sel_hi:[1,0]
	v_pk_mul_f16 v112, v112, v114 op_sel_hi:[0,1]
	;; [unrolled: 20-line block ×6, first 2 shown]
	s_waitcnt lgkmcnt(1)
	v_pk_fma_f16 v109, v121, v112, v109 op_sel_hi:[0,1,1]
	v_add_co_u32_e32 v112, vcc, s17, v40
	v_pk_fma_f16 v5, v121, v113, v5 op_sel_hi:[0,1,1]
	v_addc_co_u32_e32 v113, vcc, v41, v118, vcc
	global_load_dword v114, v[112:113], off offset:2
	v_add_co_u32_e32 v112, vcc, s17, v42
	v_addc_co_u32_e32 v113, vcc, v43, v118, vcc
	global_load_ushort v112, v[112:113], off
	v_add_co_u32_e32 v10, vcc, s22, v10
	v_addc_co_u32_e32 v11, vcc, v11, v110, vcc
	v_mov_b32_e32 v110, s46
	v_add_co_u32_e32 v12, vcc, s39, v12
	v_addc_co_u32_e32 v13, vcc, v13, v110, vcc
	v_add_co_u32_e32 v14, vcc, s39, v14
	v_addc_co_u32_e32 v15, vcc, v15, v110, vcc
	;; [unrolled: 2-line block ×8, first 2 shown]
	v_mov_b32_e32 v110, s47
	v_add_co_u32_e32 v20, vcc, s38, v20
	v_addc_co_u32_e32 v21, vcc, v21, v110, vcc
	v_add_co_u32_e32 v22, vcc, s38, v22
	v_addc_co_u32_e32 v23, vcc, v23, v110, vcc
	;; [unrolled: 2-line block ×28, first 2 shown]
	s_waitcnt vmcnt(1)
	v_cvt_f16_i16_sdwa v113, sext(v114) dst_sel:DWORD dst_unused:UNUSED_PAD src0_sel:BYTE_0
	v_cvt_f16_i16_sdwa v115, sext(v114) dst_sel:DWORD dst_unused:UNUSED_PAD src0_sel:BYTE_1
	v_add_co_u32_e32 v84, vcc, s38, v84
	v_pack_b32_f16 v113, v113, v115
	v_addc_co_u32_e32 v85, vcc, v85, v110, vcc
	s_waitcnt vmcnt(0)
	v_pk_mul_f16 v113, v113, v112 op_sel_hi:[1,0]
	v_add_co_u32_e32 v86, vcc, s38, v86
	s_waitcnt lgkmcnt(0)
	v_pk_fma_f16 v5, v122, v113, v5 op_sel_hi:[0,1,1]
	v_lshrrev_b32_e32 v113, 16, v114
	v_addc_co_u32_e32 v87, vcc, v87, v110, vcc
	v_cvt_f16_i16_sdwa v114, sext(v113) dst_sel:DWORD dst_unused:UNUSED_PAD src0_sel:BYTE_0
	v_cvt_f16_i16_sdwa v113, sext(v113) dst_sel:DWORD dst_unused:UNUSED_PAD src0_sel:BYTE_1
	v_add_co_u32_e32 v88, vcc, s38, v88
	v_pack_b32_f16 v113, v114, v113
	v_addc_co_u32_e32 v89, vcc, v89, v110, vcc
	v_pk_mul_f16 v112, v112, v113 op_sel_hi:[0,1]
	v_add_co_u32_e32 v90, vcc, s38, v90
	v_pk_fma_f16 v109, v122, v112, v109 op_sel_hi:[0,1,1]
	v_addc_co_u32_e32 v91, vcc, v91, v110, vcc
	s_cbranch_scc1 .LBB0_29
; %bb.28:                               ;   in Loop: Header=BB0_19 Depth=1
	v_mov_b32_e32 v110, v111
	s_branch .LBB0_19
.LBB0_29:
	s_cmp_lg_u64 s[24:25], 0
	v_or_b32_e32 v0, s7, v92
	s_cselect_b64 s[2:3], -1, 0
	v_cmp_eq_u32_e32 vcc, 0, v0
	s_and_b64 s[8:9], vcc, s[2:3]
	s_and_saveexec_b64 s[2:3], s[8:9]
	s_cbranch_execz .LBB0_31
; %bb.30:
	s_lshl_b64 s[8:9], s[40:41], 2
	s_add_u32 s8, s24, s8
	s_addc_u32 s9, s25, s9
	s_load_dword s8, s[8:9], 0x0
	v_max_f32_e32 v0, v111, v111
	s_mov_b32 s9, 0x3fb8aa3b
	s_mov_b32 s10, 0xc2ce8ed0
	;; [unrolled: 1-line block ×3, first 2 shown]
	s_waitcnt lgkmcnt(0)
	v_max_f32_e64 v1, s8, s8
	v_max_f32_e32 v0, v1, v0
	v_sub_f32_e32 v1, v111, v0
	v_mul_f32_e32 v2, 0x3fb8aa3b, v1
	v_fma_f32 v3, v1, s9, -v2
	v_rndne_f32_e32 v4, v2
	v_fmac_f32_e32 v3, 0x32a5705f, v1
	v_sub_f32_e32 v2, v2, v4
	v_add_f32_e32 v2, v2, v3
	v_cvt_i32_f32_e32 v3, v4
	v_exp_f32_e32 v2, v2
	v_cmp_ngt_f32_e32 vcc, s10, v1
	v_mov_b32_e32 v111, v0
	v_ldexp_f32 v2, v2, v3
	v_sub_f32_e32 v3, s8, v0
	v_mul_f32_e32 v4, 0x3fb8aa3b, v3
	v_fma_f32 v6, v3, s9, -v4
	v_rndne_f32_e32 v7, v4
	v_fmac_f32_e32 v6, 0x32a5705f, v3
	v_sub_f32_e32 v4, v4, v7
	v_add_f32_e32 v4, v4, v6
	v_exp_f32_e32 v4, v4
	v_cvt_i32_f32_e32 v6, v7
	v_cndmask_b32_e32 v2, 0, v2, vcc
	v_mov_b32_e32 v7, 0x7f800000
	v_cmp_nlt_f32_e32 vcc, s11, v1
	v_cndmask_b32_e32 v1, v7, v2, vcc
	v_ldexp_f32 v2, v4, v6
	v_cmp_ngt_f32_e32 vcc, s10, v3
	v_cndmask_b32_e32 v2, 0, v2, vcc
	v_cvt_f16_f32_e32 v4, v1
	v_cmp_nlt_f32_e32 vcc, s11, v3
	v_cndmask_b32_e32 v2, v7, v2, vcc
	v_cmp_eq_u32_e32 vcc, 0, v93
	v_cndmask_b32_e32 v2, 0, v2, vcc
	v_fmac_f32_e32 v2, v99, v1
	v_pk_mul_f16 v5, v4, v5 op_sel_hi:[0,1]
	v_pk_mul_f16 v109, v4, v109 op_sel_hi:[0,1]
	v_mov_b32_e32 v99, v2
.LBB0_31:
	s_or_b64 exec, exec, s[2:3]
	s_and_saveexec_b64 s[2:3], s[0:1]
	s_cbranch_execz .LBB0_33
; %bb.32:
	v_mov_b32_e32 v0, 0xfeffffff
	v_mov_b32_e32 v1, 0
	v_add_u32_e32 v2, 0x400, v97
	ds_write2_b32 v2, v0, v1 offset1:32
.LBB0_33:
	s_or_b64 exec, exec, s[2:3]
	v_cmp_eq_u32_e32 vcc, 0, v93
	v_lshlrev_b32_e32 v8, 2, v92
	s_waitcnt lgkmcnt(0)
	s_barrier
	s_and_saveexec_b64 s[0:1], vcc
	s_cbranch_execz .LBB0_35
; %bb.34:
	ds_write_b32 v8, v111 offset:1024
.LBB0_35:
	s_or_b64 exec, exec, s[0:1]
	v_mbcnt_hi_u32_b32 v3, -1, v98
	s_waitcnt lgkmcnt(0)
	s_barrier
	ds_read_b32 v0, v97 offset:1024
	v_and_b32_e32 v1, 0x60, v3
	v_add_u32_e32 v7, 32, v1
	v_xor_b32_e32 v1, 16, v3
	v_cmp_lt_i32_e64 s[0:1], v1, v7
	v_cndmask_b32_e64 v1, v3, v1, s[0:1]
	v_lshlrev_b32_e32 v4, 2, v1
	s_waitcnt lgkmcnt(0)
	ds_bpermute_b32 v1, v4, v0
	v_max_f32_e32 v0, v0, v0
	s_waitcnt lgkmcnt(0)
	v_max_f32_e32 v1, v1, v1
	v_max_f32_e32 v0, v0, v1
	v_xor_b32_e32 v1, 8, v3
	v_cmp_lt_i32_e64 s[0:1], v1, v7
	v_cndmask_b32_e64 v1, v3, v1, s[0:1]
	v_lshlrev_b32_e32 v1, 2, v1
	ds_bpermute_b32 v2, v1, v0
	s_waitcnt lgkmcnt(0)
	v_max_f32_e32 v2, v2, v2
	v_max_f32_e32 v0, v0, v2
	v_xor_b32_e32 v2, 4, v3
	v_cmp_lt_i32_e64 s[0:1], v2, v7
	v_cndmask_b32_e64 v2, v3, v2, s[0:1]
	v_lshlrev_b32_e32 v2, 2, v2
	ds_bpermute_b32 v6, v2, v0
	;; [unrolled: 8-line block ×4, first 2 shown]
	s_mov_b32 s0, 0x3fb8aa3b
	s_waitcnt lgkmcnt(0)
	v_max_f32_e32 v3, v3, v3
	v_max_f32_e32 v0, v0, v3
	v_sub_f32_e32 v3, v111, v0
	v_mul_f32_e32 v9, 0x3fb8aa3b, v3
	v_fma_f32 v10, v3, s0, -v9
	v_rndne_f32_e32 v11, v9
	v_fmac_f32_e32 v10, 0x32a5705f, v3
	v_sub_f32_e32 v9, v9, v11
	v_add_f32_e32 v9, v9, v10
	v_exp_f32_e32 v9, v9
	v_cvt_i32_f32_e32 v10, v11
	s_mov_b32 s0, 0xc2ce8ed0
	v_cmp_ngt_f32_e64 s[0:1], s0, v3
	v_ldexp_f32 v9, v9, v10
	v_cndmask_b32_e64 v9, 0, v9, s[0:1]
	s_mov_b32 s0, 0x42b17218
	v_mov_b32_e32 v10, 0x7f800000
	v_cmp_nlt_f32_e64 s[0:1], s0, v3
	v_cndmask_b32_e64 v3, v10, v9, s[0:1]
	v_mul_f32_e32 v9, v99, v3
	ds_bpermute_b32 v9, v4, v9
	s_movk_i32 s0, 0x78
	s_waitcnt lgkmcnt(0)
	v_fmac_f32_e32 v9, v99, v3
	ds_bpermute_b32 v10, v1, v9
	v_cvt_f16_f32_e32 v3, v3
	s_waitcnt lgkmcnt(0)
	v_add_f32_e32 v9, v9, v10
	ds_bpermute_b32 v10, v2, v9
	v_pk_mul_f16 v11, v3, v109 op_sel_hi:[0,1]
	s_waitcnt lgkmcnt(0)
	v_add_f32_e32 v9, v9, v10
	ds_bpermute_b32 v12, v6, v9
	v_pk_mul_f16 v10, v3, v5 op_sel_hi:[0,1]
	v_lshlrev_b32_e32 v3, 3, v93
	v_and_b32_e32 v5, 0x380, v3
	v_lshl_add_u32 v5, v92, 8, v5
	s_waitcnt lgkmcnt(0)
	v_add_f32_e32 v9, v9, v12
	ds_bpermute_b32 v12, v7, v9
	v_and_or_b32 v3, v3, s0, v5
	ds_write_b64 v3, v[10:11]
	s_waitcnt lgkmcnt(1)
	v_add_f32_e32 v3, v9, v12
	s_and_saveexec_b64 s[0:1], vcc
	s_cbranch_execz .LBB0_37
; %bb.36:
	ds_write_b32 v8, v3 offset:1152
.LBB0_37:
	s_or_b64 exec, exec, s[0:1]
	v_cmp_lt_u32_e32 vcc, 63, v94
	s_waitcnt lgkmcnt(0)
	s_barrier
	s_waitcnt lgkmcnt(0)
                                        ; implicit-def: $sgpr2
	s_and_saveexec_b64 s[0:1], vcc
	s_xor_b64 s[0:1], exec, s[0:1]
	s_cbranch_execz .LBB0_39
; %bb.38:
	s_load_dword s2, s[4:5], 0xd4
                                        ; implicit-def: $vgpr97
                                        ; implicit-def: $vgpr4
                                        ; implicit-def: $vgpr96
                                        ; implicit-def: $vgpr1
                                        ; implicit-def: $vgpr2
                                        ; implicit-def: $vgpr6
                                        ; implicit-def: $vgpr7
.LBB0_39:
	s_or_saveexec_b64 s[0:1], s[0:1]
	s_waitcnt lgkmcnt(0)
	v_mov_b32_e32 v5, s2
	s_mul_i32 s2, s33, s34
	s_xor_b64 exec, exec, s[0:1]
	s_cbranch_execz .LBB0_41
; %bb.40:
	ds_read_b32 v5, v97 offset:1152
	ds_read_u16 v3, v96
	ds_read_u16 v8, v96 offset:128
	ds_read_u16 v10, v96 offset:256
	;; [unrolled: 1-line block ×6, first 2 shown]
	s_waitcnt lgkmcnt(6)
	v_cvt_f32_f16_e32 v3, v3
	ds_bpermute_b32 v9, v4, v5
	s_waitcnt lgkmcnt(6)
	v_cvt_f32_f16_e32 v4, v8
	s_waitcnt lgkmcnt(5)
	v_cvt_f32_f16_e32 v10, v10
	;; [unrolled: 2-line block ×3, first 2 shown]
	v_add_f32_e32 v3, 0, v3
	v_add_f32_e32 v3, v3, v4
	;; [unrolled: 1-line block ×3, first 2 shown]
	s_waitcnt lgkmcnt(0)
	v_pk_add_f32 v[4:5], v[4:5], v[8:9]
	ds_bpermute_b32 v9, v1, v5
	v_cvt_f32_f16_e32 v8, v12
	ds_read_u16 v1, v96 offset:896
	s_load_dword s3, s[4:5], 0xd4
	s_waitcnt lgkmcnt(0)
	v_pk_add_f32 v[4:5], v[4:5], v[8:9]
	ds_bpermute_b32 v3, v2, v5
	v_cvt_f32_f16_e32 v2, v13
	s_cmp_eq_u32 s3, 1
	s_waitcnt lgkmcnt(0)
	v_pk_add_f32 v[2:3], v[4:5], v[2:3]
	ds_bpermute_b32 v5, v6, v3
	v_cvt_f32_f16_e32 v4, v14
	s_waitcnt lgkmcnt(0)
	v_pk_add_f32 v[2:3], v[2:3], v[4:5]
	ds_bpermute_b32 v5, v7, v3
	v_cvt_f32_f16_e32 v4, v1
	v_mov_b32_e32 v7, 0
	s_waitcnt lgkmcnt(0)
	v_pk_add_f32 v[2:3], v[2:3], v[4:5]
	v_div_scale_f32 v1, s[4:5], v3, v3, v2
	v_rcp_f32_e32 v4, v1
	v_div_scale_f32 v5, vcc, v2, v3, v2
	v_fma_f32 v6, -v1, v4, 1.0
	v_fmac_f32_e32 v4, v6, v4
	v_mul_f32_e32 v6, v5, v4
	v_fma_f32 v8, -v1, v6, v5
	v_fmac_f32_e32 v6, v8, v4
	v_fma_f32 v1, -v1, v6, v5
	v_div_fmas_f32 v1, v1, v4, v6
	s_cselect_b64 vcc, -1, 0
	s_add_i32 s4, s2, s6
	s_mul_i32 s4, s4, s35
	s_add_i32 s4, s4, s40
	s_mul_i32 s4, s3, s4
	s_add_i32 s4, s4, s7
	v_lshl_or_b32 v6, s4, 6, v94
	v_div_fixup_f32 v1, v1, v3, v2
	v_lshlrev_b64 v[4:5], 2, v[6:7]
	v_cndmask_b32_e32 v1, v2, v1, vcc
	v_mov_b32_e32 v2, s29
	v_add_co_u32_e32 v4, vcc, s28, v4
	v_addc_co_u32_e32 v5, vcc, v2, v5, vcc
	global_store_dword v[4:5], v1, off
	v_mov_b32_e32 v5, s3
.LBB0_41:
	s_or_b64 exec, exec, s[0:1]
	v_cmp_ne_u32_e32 vcc, 1, v5
	v_cmp_eq_u32_e64 s[0:1], 0, v94
	s_and_b64 s[0:1], s[0:1], vcc
	s_and_saveexec_b64 s[4:5], s[0:1]
	s_cbranch_execz .LBB0_43
; %bb.42:
	s_add_i32 s0, s2, s6
	s_mul_i32 s0, s0, s35
	s_add_i32 s0, s0, s40
	v_mul_lo_u32 v1, v5, s0
	v_add_u32_e32 v4, s7, v1
	v_mov_b32_e32 v5, 0
	v_lshlrev_b64 v[4:5], 3, v[4:5]
	v_mov_b32_e32 v1, s31
	v_add_co_u32_e32 v4, vcc, s30, v4
	v_addc_co_u32_e32 v5, vcc, v1, v5, vcc
	v_mov_b32_e32 v1, v3
	global_store_dwordx2 v[4:5], v[0:1], off
.LBB0_43:
	s_endpgm
	.section	.rodata,"a",@progbits
	.p2align	6, 0x0
	.amdhsa_kernel _ZL18flash_attn_ext_vecILi64ELi1EL9ggml_type6ELS0_8ELb0EEvPKcS2_S2_S2_S2_PKiPfP15HIP_vector_typeIfLj2EEffffjfiS6_IjLj3EEiiiiiiiiiiiliiliiiiil
		.amdhsa_group_segment_fixed_size 1280
		.amdhsa_private_segment_fixed_size 0
		.amdhsa_kernarg_size 464
		.amdhsa_user_sgpr_count 6
		.amdhsa_user_sgpr_private_segment_buffer 1
		.amdhsa_user_sgpr_dispatch_ptr 0
		.amdhsa_user_sgpr_queue_ptr 0
		.amdhsa_user_sgpr_kernarg_segment_ptr 1
		.amdhsa_user_sgpr_dispatch_id 0
		.amdhsa_user_sgpr_flat_scratch_init 0
		.amdhsa_user_sgpr_kernarg_preload_length 0
		.amdhsa_user_sgpr_kernarg_preload_offset 0
		.amdhsa_user_sgpr_private_segment_size 0
		.amdhsa_uses_dynamic_stack 0
		.amdhsa_system_sgpr_private_segment_wavefront_offset 0
		.amdhsa_system_sgpr_workgroup_id_x 1
		.amdhsa_system_sgpr_workgroup_id_y 1
		.amdhsa_system_sgpr_workgroup_id_z 1
		.amdhsa_system_sgpr_workgroup_info 0
		.amdhsa_system_vgpr_workitem_id 1
		.amdhsa_next_free_vgpr 129
		.amdhsa_next_free_sgpr 62
		.amdhsa_accum_offset 132
		.amdhsa_reserve_vcc 1
		.amdhsa_reserve_flat_scratch 0
		.amdhsa_float_round_mode_32 0
		.amdhsa_float_round_mode_16_64 0
		.amdhsa_float_denorm_mode_32 3
		.amdhsa_float_denorm_mode_16_64 3
		.amdhsa_dx10_clamp 1
		.amdhsa_ieee_mode 1
		.amdhsa_fp16_overflow 0
		.amdhsa_tg_split 0
		.amdhsa_exception_fp_ieee_invalid_op 0
		.amdhsa_exception_fp_denorm_src 0
		.amdhsa_exception_fp_ieee_div_zero 0
		.amdhsa_exception_fp_ieee_overflow 0
		.amdhsa_exception_fp_ieee_underflow 0
		.amdhsa_exception_fp_ieee_inexact 0
		.amdhsa_exception_int_div_zero 0
	.end_amdhsa_kernel
	.section	.text._ZL18flash_attn_ext_vecILi64ELi1EL9ggml_type6ELS0_8ELb0EEvPKcS2_S2_S2_S2_PKiPfP15HIP_vector_typeIfLj2EEffffjfiS6_IjLj3EEiiiiiiiiiiiliiliiiiil,"axG",@progbits,_ZL18flash_attn_ext_vecILi64ELi1EL9ggml_type6ELS0_8ELb0EEvPKcS2_S2_S2_S2_PKiPfP15HIP_vector_typeIfLj2EEffffjfiS6_IjLj3EEiiiiiiiiiiiliiliiiiil,comdat
.Lfunc_end0:
	.size	_ZL18flash_attn_ext_vecILi64ELi1EL9ggml_type6ELS0_8ELb0EEvPKcS2_S2_S2_S2_PKiPfP15HIP_vector_typeIfLj2EEffffjfiS6_IjLj3EEiiiiiiiiiiiliiliiiiil, .Lfunc_end0-_ZL18flash_attn_ext_vecILi64ELi1EL9ggml_type6ELS0_8ELb0EEvPKcS2_S2_S2_S2_PKiPfP15HIP_vector_typeIfLj2EEffffjfiS6_IjLj3EEiiiiiiiiiiiliiliiiiil
                                        ; -- End function
	.section	.AMDGPU.csdata,"",@progbits
; Kernel info:
; codeLenInByte = 11148
; NumSgprs: 66
; NumVgprs: 129
; NumAgprs: 0
; TotalNumVgprs: 129
; ScratchSize: 0
; MemoryBound: 0
; FloatMode: 240
; IeeeMode: 1
; LDSByteSize: 1280 bytes/workgroup (compile time only)
; SGPRBlocks: 8
; VGPRBlocks: 16
; NumSGPRsForWavesPerEU: 66
; NumVGPRsForWavesPerEU: 129
; AccumOffset: 132
; Occupancy: 3
; WaveLimiterHint : 0
; COMPUTE_PGM_RSRC2:SCRATCH_EN: 0
; COMPUTE_PGM_RSRC2:USER_SGPR: 6
; COMPUTE_PGM_RSRC2:TRAP_HANDLER: 0
; COMPUTE_PGM_RSRC2:TGID_X_EN: 1
; COMPUTE_PGM_RSRC2:TGID_Y_EN: 1
; COMPUTE_PGM_RSRC2:TGID_Z_EN: 1
; COMPUTE_PGM_RSRC2:TIDIG_COMP_CNT: 1
; COMPUTE_PGM_RSRC3_GFX90A:ACCUM_OFFSET: 32
; COMPUTE_PGM_RSRC3_GFX90A:TG_SPLIT: 0
	.section	.text._ZL25flash_attn_mask_to_KV_maxILi1EEvPK7__half2Piiii,"axG",@progbits,_ZL25flash_attn_mask_to_KV_maxILi1EEvPK7__half2Piiii,comdat
	.globl	_ZL25flash_attn_mask_to_KV_maxILi1EEvPK7__half2Piiii ; -- Begin function _ZL25flash_attn_mask_to_KV_maxILi1EEvPK7__half2Piiii
	.p2align	8
	.type	_ZL25flash_attn_mask_to_KV_maxILi1EEvPK7__half2Piiii,@function
_ZL25flash_attn_mask_to_KV_maxILi1EEvPK7__half2Piiii: ; @_ZL25flash_attn_mask_to_KV_maxILi1EEvPK7__half2Piiii
; %bb.0:
	s_load_dwordx4 s[8:11], s[4:5], 0x0
	v_cmp_gt_u32_e32 vcc, 32, v0
	s_and_saveexec_b64 s[0:1], vcc
	s_cbranch_execz .LBB1_2
; %bb.1:
	v_lshlrev_b32_e32 v1, 2, v0
	v_mov_b32_e32 v2, 1
	ds_write_b32 v1, v2
.LBB1_2:
	s_or_b64 exec, exec, s[0:1]
	s_load_dwordx4 s[0:3], s[4:5], 0x10
	s_load_dword s12, s[4:5], 0x20
	v_and_b32_e32 v2, 31, v0
	v_cmp_eq_u32_e32 vcc, 0, v2
	v_lshlrev_b32_e32 v4, 2, v2
	s_waitcnt lgkmcnt(0)
	s_mul_i32 s2, s7, s2
	s_mul_i32 s1, s6, s1
	s_add_i32 s2, s2, s1
	s_ashr_i32 s3, s2, 31
	v_mbcnt_lo_u32_b32 v2, -1, 0
	s_lshl_b64 s[2:3], s[2:3], 2
	v_mbcnt_hi_u32_b32 v5, -1, v2
	s_add_u32 s13, s8, s2
	v_and_b32_e32 v2, 0x60, v5
	s_addc_u32 s14, s9, s3
	s_lshl_b32 s15, s0, 8
	v_lshrrev_b32_e32 v1, 3, v0
	s_mov_b64 s[4:5], 0
	v_mov_b32_e32 v3, 0
	s_movk_i32 s16, 0x204
	s_movk_i32 s17, 0x7fff
	;; [unrolled: 1-line block ×3, first 2 shown]
	v_add_u32_e32 v6, 32, v2
	v_xor_b32_e32 v7, 16, v5
	v_xor_b32_e32 v8, 8, v5
	;; [unrolled: 1-line block ×5, first 2 shown]
	s_barrier
	s_waitcnt lgkmcnt(0)
                                        ; implicit-def: $sgpr0_sgpr1
	s_branch .LBB1_5
.LBB1_3:                                ;   in Loop: Header=BB1_5 Depth=1
	s_or_b64 exec, exec, s[2:3]
	s_waitcnt lgkmcnt(0)
	s_barrier
	ds_read_b32 v16, v4
	s_waitcnt lgkmcnt(0)
	s_barrier
	ds_bpermute_b32 v2, v2, v16
	v_cmp_ne_u32_e64 s[0:1], 0, v16
	s_waitcnt lgkmcnt(0)
	v_cmp_ne_u32_e64 s[2:3], 0, v2
	s_and_b64 s[2:3], s[0:1], s[2:3]
	v_cndmask_b32_e64 v2, 0, 1, s[2:3]
	ds_bpermute_b32 v2, v12, v2
	s_waitcnt lgkmcnt(0)
	v_cmp_ne_u32_e64 s[0:1], 0, v2
	s_and_b64 s[2:3], s[0:1], s[2:3]
	v_cndmask_b32_e64 v2, 0, 1, s[2:3]
	ds_bpermute_b32 v2, v13, v2
	;; [unrolled: 5-line block ×4, first 2 shown]
	s_xor_b64 s[2:3], s[0:1], -1
	s_waitcnt lgkmcnt(0)
	v_cmp_eq_u32_e64 s[0:1], 0, v2
	s_or_b64 s[0:1], s[0:1], s[2:3]
.LBB1_4:                                ;   in Loop: Header=BB1_5 Depth=1
	s_and_b64 s[2:3], exec, s[0:1]
	s_or_b64 s[4:5], s[2:3], s[4:5]
	v_mov_b32_e32 v2, s15
	s_mov_b32 s15, s19
	s_andn2_b64 exec, exec, s[4:5]
	s_cbranch_execz .LBB1_8
.LBB1_5:                                ; =>This Inner Loop Header: Depth=1
	s_add_i32 s19, s15, 0xffffff00
	s_or_b64 s[0:1], s[0:1], exec
	s_cmp_lt_i32 s19, 0
	s_cbranch_scc1 .LBB1_4
; %bb.6:                                ;   in Loop: Header=BB1_5 Depth=1
	s_lshr_b32 s0, s19, 1
	v_add_u32_e32 v2, s0, v0
	v_lshlrev_b64 v[12:13], 2, v[2:3]
	v_mov_b32_e32 v2, s14
	v_add_co_u32_e64 v12, s[0:1], s13, v12
	v_addc_co_u32_e64 v13, s[0:1], v2, v13, s[0:1]
	global_load_dword v12, v[12:13], off
	v_cmp_lt_i32_e64 s[0:1], v7, v6
	v_cndmask_b32_e64 v2, v5, v7, s[0:1]
	v_lshlrev_b32_e32 v2, 2, v2
	s_waitcnt vmcnt(0)
	v_cmp_class_f16_e64 s[2:3], v12, s16
	v_and_b32_sdwa v12, s17, v12 dst_sel:DWORD dst_unused:UNUSED_PAD src0_sel:DWORD src1_sel:WORD_1
	v_cmp_eq_f16_e64 s[0:1], s18, v12
	s_and_b64 s[2:3], s[2:3], s[0:1]
	v_cndmask_b32_e64 v12, 0, 1, s[2:3]
	ds_bpermute_b32 v13, v2, v12
	v_cmp_lt_i32_e64 s[0:1], v8, v6
	v_cndmask_b32_e64 v12, v5, v8, s[0:1]
	v_lshlrev_b32_e32 v12, 2, v12
	s_waitcnt lgkmcnt(0)
	v_cmp_ne_u32_e64 s[0:1], 0, v13
	s_and_b64 s[2:3], s[2:3], s[0:1]
	v_cndmask_b32_e64 v13, 0, 1, s[2:3]
	ds_bpermute_b32 v14, v12, v13
	v_cmp_lt_i32_e64 s[0:1], v9, v6
	v_cndmask_b32_e64 v13, v5, v9, s[0:1]
	v_lshlrev_b32_e32 v13, 2, v13
	s_waitcnt lgkmcnt(0)
	v_cmp_ne_u32_e64 s[0:1], 0, v14
	s_and_b64 s[2:3], s[0:1], s[2:3]
	v_cndmask_b32_e64 v14, 0, 1, s[2:3]
	ds_bpermute_b32 v15, v13, v14
	v_cmp_lt_i32_e64 s[0:1], v10, v6
	v_cndmask_b32_e64 v14, v5, v10, s[0:1]
	v_lshlrev_b32_e32 v14, 2, v14
	s_waitcnt lgkmcnt(0)
	v_cmp_ne_u32_e64 s[0:1], 0, v15
	s_and_b64 s[2:3], s[0:1], s[2:3]
	v_cndmask_b32_e64 v15, 0, 1, s[2:3]
	ds_bpermute_b32 v15, v14, v15
	v_cmp_lt_i32_e64 s[0:1], v11, v6
	v_cndmask_b32_e64 v16, v5, v11, s[0:1]
	s_waitcnt lgkmcnt(0)
	v_cmp_ne_u32_e64 s[0:1], 0, v15
	s_and_b64 s[8:9], s[0:1], s[2:3]
	v_cndmask_b32_e64 v17, 0, 1, s[8:9]
	v_lshlrev_b32_e32 v15, 2, v16
	ds_bpermute_b32 v16, v15, v17
	s_and_saveexec_b64 s[2:3], vcc
	s_cbranch_execz .LBB1_3
; %bb.7:                                ;   in Loop: Header=BB1_5 Depth=1
	s_waitcnt lgkmcnt(0)
	v_cmp_ne_u32_e64 s[0:1], 0, v16
	s_and_b64 s[0:1], s[0:1], s[8:9]
	v_cndmask_b32_e64 v16, 0, 1, s[0:1]
	ds_write_b32 v1, v16
	s_branch .LBB1_3
.LBB1_8:
	s_or_b64 exec, exec, s[4:5]
	v_cmp_eq_u32_e32 vcc, 0, v0
	s_and_saveexec_b64 s[0:1], vcc
	s_cbranch_execz .LBB1_10
; %bb.9:
	s_mul_i32 s0, s12, s7
	s_add_i32 s0, s0, s6
	s_ashr_i32 s1, s0, 31
	s_lshl_b64 s[0:1], s[0:1], 2
	s_add_u32 s0, s10, s0
	s_addc_u32 s1, s11, s1
	v_mov_b32_e32 v0, 0
	global_store_dword v0, v2, s[0:1]
.LBB1_10:
	s_endpgm
	.section	.rodata,"a",@progbits
	.p2align	6, 0x0
	.amdhsa_kernel _ZL25flash_attn_mask_to_KV_maxILi1EEvPK7__half2Piiii
		.amdhsa_group_segment_fixed_size 128
		.amdhsa_private_segment_fixed_size 0
		.amdhsa_kernarg_size 288
		.amdhsa_user_sgpr_count 6
		.amdhsa_user_sgpr_private_segment_buffer 1
		.amdhsa_user_sgpr_dispatch_ptr 0
		.amdhsa_user_sgpr_queue_ptr 0
		.amdhsa_user_sgpr_kernarg_segment_ptr 1
		.amdhsa_user_sgpr_dispatch_id 0
		.amdhsa_user_sgpr_flat_scratch_init 0
		.amdhsa_user_sgpr_kernarg_preload_length 0
		.amdhsa_user_sgpr_kernarg_preload_offset 0
		.amdhsa_user_sgpr_private_segment_size 0
		.amdhsa_uses_dynamic_stack 0
		.amdhsa_system_sgpr_private_segment_wavefront_offset 0
		.amdhsa_system_sgpr_workgroup_id_x 1
		.amdhsa_system_sgpr_workgroup_id_y 1
		.amdhsa_system_sgpr_workgroup_id_z 0
		.amdhsa_system_sgpr_workgroup_info 0
		.amdhsa_system_vgpr_workitem_id 0
		.amdhsa_next_free_vgpr 18
		.amdhsa_next_free_sgpr 20
		.amdhsa_accum_offset 20
		.amdhsa_reserve_vcc 1
		.amdhsa_reserve_flat_scratch 0
		.amdhsa_float_round_mode_32 0
		.amdhsa_float_round_mode_16_64 0
		.amdhsa_float_denorm_mode_32 3
		.amdhsa_float_denorm_mode_16_64 3
		.amdhsa_dx10_clamp 1
		.amdhsa_ieee_mode 1
		.amdhsa_fp16_overflow 0
		.amdhsa_tg_split 0
		.amdhsa_exception_fp_ieee_invalid_op 0
		.amdhsa_exception_fp_denorm_src 0
		.amdhsa_exception_fp_ieee_div_zero 0
		.amdhsa_exception_fp_ieee_overflow 0
		.amdhsa_exception_fp_ieee_underflow 0
		.amdhsa_exception_fp_ieee_inexact 0
		.amdhsa_exception_int_div_zero 0
	.end_amdhsa_kernel
	.section	.text._ZL25flash_attn_mask_to_KV_maxILi1EEvPK7__half2Piiii,"axG",@progbits,_ZL25flash_attn_mask_to_KV_maxILi1EEvPK7__half2Piiii,comdat
.Lfunc_end1:
	.size	_ZL25flash_attn_mask_to_KV_maxILi1EEvPK7__half2Piiii, .Lfunc_end1-_ZL25flash_attn_mask_to_KV_maxILi1EEvPK7__half2Piiii
                                        ; -- End function
	.section	.AMDGPU.csdata,"",@progbits
; Kernel info:
; codeLenInByte = 844
; NumSgprs: 24
; NumVgprs: 18
; NumAgprs: 0
; TotalNumVgprs: 18
; ScratchSize: 0
; MemoryBound: 0
; FloatMode: 240
; IeeeMode: 1
; LDSByteSize: 128 bytes/workgroup (compile time only)
; SGPRBlocks: 2
; VGPRBlocks: 2
; NumSGPRsForWavesPerEU: 24
; NumVGPRsForWavesPerEU: 18
; AccumOffset: 20
; Occupancy: 8
; WaveLimiterHint : 0
; COMPUTE_PGM_RSRC2:SCRATCH_EN: 0
; COMPUTE_PGM_RSRC2:USER_SGPR: 6
; COMPUTE_PGM_RSRC2:TRAP_HANDLER: 0
; COMPUTE_PGM_RSRC2:TGID_X_EN: 1
; COMPUTE_PGM_RSRC2:TGID_Y_EN: 1
; COMPUTE_PGM_RSRC2:TGID_Z_EN: 0
; COMPUTE_PGM_RSRC2:TIDIG_COMP_CNT: 0
; COMPUTE_PGM_RSRC3_GFX90A:ACCUM_OFFSET: 4
; COMPUTE_PGM_RSRC3_GFX90A:TG_SPLIT: 0
	.section	.text._ZL33flash_attn_stream_k_fixup_uniformILi64ELi1ELi1EEvPfPK15HIP_vector_typeIfLj2EEiiiiiiS1_IjLj3EES5_S5_,"axG",@progbits,_ZL33flash_attn_stream_k_fixup_uniformILi64ELi1ELi1EEvPfPK15HIP_vector_typeIfLj2EEiiiiiiS1_IjLj3EES5_S5_,comdat
	.globl	_ZL33flash_attn_stream_k_fixup_uniformILi64ELi1ELi1EEvPfPK15HIP_vector_typeIfLj2EEiiiiiiS1_IjLj3EES5_S5_ ; -- Begin function _ZL33flash_attn_stream_k_fixup_uniformILi64ELi1ELi1EEvPfPK15HIP_vector_typeIfLj2EEiiiiiiS1_IjLj3EES5_S5_
	.p2align	8
	.type	_ZL33flash_attn_stream_k_fixup_uniformILi64ELi1ELi1EEvPfPK15HIP_vector_typeIfLj2EEiiiiiiS1_IjLj3EES5_S5_,@function
_ZL33flash_attn_stream_k_fixup_uniformILi64ELi1ELi1EEvPfPK15HIP_vector_typeIfLj2EEiiiiiiS1_IjLj3EES5_S5_: ; @_ZL33flash_attn_stream_k_fixup_uniformILi64ELi1ELi1EEvPfPK15HIP_vector_typeIfLj2EEiiiiiiS1_IjLj3EES5_S5_
; %bb.0:
	s_load_dwordx8 s[12:19], s[4:5], 0x1c
	s_load_dwordx2 s[10:11], s[4:5], 0x10
	s_load_dwordx4 s[0:3], s[4:5], 0x3c
	s_waitcnt lgkmcnt(0)
	s_mul_hi_u32 s9, s15, s6
	s_add_i32 s9, s6, s9
	s_lshr_b32 s9, s9, s16
	s_mul_i32 s15, s9, s17
	s_sub_i32 s16, s6, s15
	s_mul_hi_u32 s15, s16, s18
	s_add_i32 s15, s16, s15
	s_lshr_b32 s15, s15, s19
	s_mul_i32 s0, s15, s0
	s_sub_i32 s0, s16, s0
	;; [unrolled: 5-line block ×3, first 2 shown]
	s_add_i32 s16, s16, s7
	s_cmp_lt_i32 s16, s10
	s_cselect_b64 s[0:1], -1, 0
	s_add_i32 s17, s17, s8
	s_cmp_lt_i32 s17, s13
	s_cselect_b64 s[2:3], -1, 0
	s_and_b64 s[0:1], s[0:1], s[2:3]
	s_andn2_b64 vcc, exec, s[0:1]
	s_cbranch_vccnz .LBB2_6
; %bb.1:
	s_mul_i32 s9, s9, s10
	s_load_dwordx4 s[0:3], s[4:5], 0x0
	s_mul_i32 s15, s15, s13
	s_add_i32 s4, s16, s9
	s_mul_i32 s4, s4, s11
	s_add_i32 s5, s17, s15
	s_add_i32 s5, s5, s4
	v_lshl_or_b32 v2, s5, 6, v0
	v_ashrrev_i32_e32 v3, 31, v2
	v_lshlrev_b64 v[2:3], 2, v[2:3]
	s_waitcnt lgkmcnt(0)
	v_mov_b32_e32 v1, s1
	v_add_co_u32_e32 v2, vcc, s0, v2
	v_addc_co_u32_e32 v3, vcc, v1, v3, vcc
	global_load_dword v8, v[2:3], off
	s_mul_i32 s4, s6, s14
	s_add_i32 s7, s7, s8
	s_add_i32 s6, s4, s14
	s_add_i32 s8, s7, s6
	s_add_i32 s0, s8, -1
	s_ashr_i32 s1, s0, 31
	s_lshl_b64 s[0:1], s[0:1], 3
	s_add_u32 s0, s2, s0
	s_addc_u32 s1, s3, s1
	s_load_dword s9, s[0:1], 0x4
	s_add_i32 s5, s6, -2
	s_cmp_lt_i32 s5, s4
	s_cbranch_scc1 .LBB2_4
; %bb.2:
	s_lshl_b32 s10, s12, 2
	s_load_dword s0, s[0:1], 0x0
	s_ashr_i32 s11, s10, 31
	s_lshl_b64 s[10:11], s[10:11], 2
	s_add_u32 s5, s2, s10
	s_addc_u32 s10, s3, s11
	v_lshl_or_b32 v0, s8, 6, v0
	s_add_i32 s6, s6, -1
	s_add_i32 s7, s7, s12
	v_add_u32_e32 v0, 0xffffff80, v0
	s_waitcnt lgkmcnt(0)
	v_mov_b32_e32 v7, s9
	v_mov_b32_e32 v6, s0
	;; [unrolled: 1-line block ×3, first 2 shown]
	s_mov_b32 s8, 0x3fb8aa3b
	s_mov_b32 s9, 0xc2ce8ed0
	;; [unrolled: 1-line block ×3, first 2 shown]
	v_mov_b32_e32 v5, 0x7f800000
	s_mov_b32 s11, 0xc1a00000
.LBB2_3:                                ; =>This Inner Loop Header: Depth=1
	v_ashrrev_i32_e32 v1, 31, v0
	v_lshlrev_b64 v[10:11], 2, v[0:1]
	v_add_co_u32_e32 v10, vcc, s5, v10
	v_addc_co_u32_e32 v11, vcc, v4, v11, vcc
	global_load_dword v1, v[10:11], off
	s_add_i32 s6, s6, -1
	s_add_i32 s0, s6, s7
	s_ashr_i32 s1, s0, 31
	s_lshl_b64 s[0:1], s[0:1], 3
	s_add_u32 s0, s2, s0
	s_addc_u32 s1, s3, s1
	s_load_dwordx2 s[12:13], s[0:1], 0x0
	s_waitcnt vmcnt(1)
	v_mov_b32_e32 v9, v8
	v_max_f32_e32 v8, v6, v6
	v_mov_b32_e32 v10, v7
	v_subrev_u32_e32 v0, 64, v0
	s_waitcnt lgkmcnt(0)
	v_max_f32_e64 v7, s12, s12
	v_max_f32_e32 v7, v8, v7
	v_sub_f32_e32 v11, s12, v7
	v_sub_f32_e32 v8, v6, v7
	v_mul_f32_e32 v12, 0x3fb8aa3b, v11
	v_mov_b32_e32 v6, v7
	v_mul_f32_e32 v7, 0x3fb8aa3b, v8
	v_fma_f32 v15, v11, s8, -v12
	v_rndne_f32_e32 v16, v12
	v_fma_f32 v13, v8, s8, -v7
	v_rndne_f32_e32 v14, v7
	v_fmac_f32_e32 v15, 0x32a5705f, v11
	v_sub_f32_e32 v12, v12, v16
	v_fmac_f32_e32 v13, 0x32a5705f, v8
	v_sub_f32_e32 v7, v7, v14
	v_add_f32_e32 v12, v12, v15
	v_cvt_i32_f32_e32 v16, v16
	v_add_f32_e32 v7, v7, v13
	v_exp_f32_e32 v12, v12
	v_cvt_i32_f32_e32 v14, v14
	v_exp_f32_e32 v7, v7
	v_cmp_ngt_f32_e32 vcc, s9, v11
	v_ldexp_f32 v12, v12, v16
	v_cmp_ngt_f32_e64 s[0:1], s9, v8
	v_ldexp_f32 v7, v7, v14
	v_cndmask_b32_e32 v12, 0, v12, vcc
	v_cmp_nlt_f32_e32 vcc, s10, v11
	v_cndmask_b32_e64 v7, 0, v7, s[0:1]
	v_cmp_nlt_f32_e64 s[0:1], s10, v8
	v_cndmask_b32_e32 v12, v5, v12, vcc
	v_cmp_le_f32_e32 vcc, s11, v11
	v_cndmask_b32_e64 v7, v5, v7, s[0:1]
	v_cmp_le_f32_e64 s[0:1], s11, v8
	v_cndmask_b32_e32 v8, 0, v12, vcc
	v_cndmask_b32_e64 v11, 0, v7, s[0:1]
	v_mul_f32_e32 v7, s13, v8
	s_cmp_le_i32 s6, s4
	v_fmac_f32_e32 v7, v10, v11
	s_waitcnt vmcnt(0)
	v_mul_f32_e32 v8, v1, v8
	v_fmac_f32_e32 v8, v9, v11
	s_cbranch_scc0 .LBB2_3
	s_branch .LBB2_5
.LBB2_4:
	s_waitcnt lgkmcnt(0)
	v_mov_b32_e32 v7, s9
.LBB2_5:
	s_waitcnt vmcnt(0)
	v_div_scale_f32 v0, s[0:1], v7, v7, v8
	v_rcp_f32_e32 v1, v0
	v_div_scale_f32 v4, vcc, v8, v7, v8
	v_fma_f32 v5, -v0, v1, 1.0
	v_fmac_f32_e32 v1, v5, v1
	v_mul_f32_e32 v5, v4, v1
	v_fma_f32 v6, -v0, v5, v4
	v_fmac_f32_e32 v5, v6, v1
	v_fma_f32 v0, -v0, v5, v4
	v_div_fmas_f32 v0, v0, v1, v5
	v_div_fixup_f32 v0, v0, v7, v8
	global_store_dword v[2:3], v0, off
.LBB2_6:
	s_endpgm
	.section	.rodata,"a",@progbits
	.p2align	6, 0x0
	.amdhsa_kernel _ZL33flash_attn_stream_k_fixup_uniformILi64ELi1ELi1EEvPfPK15HIP_vector_typeIfLj2EEiiiiiiS1_IjLj3EES5_S5_
		.amdhsa_group_segment_fixed_size 0
		.amdhsa_private_segment_fixed_size 0
		.amdhsa_kernarg_size 76
		.amdhsa_user_sgpr_count 6
		.amdhsa_user_sgpr_private_segment_buffer 1
		.amdhsa_user_sgpr_dispatch_ptr 0
		.amdhsa_user_sgpr_queue_ptr 0
		.amdhsa_user_sgpr_kernarg_segment_ptr 1
		.amdhsa_user_sgpr_dispatch_id 0
		.amdhsa_user_sgpr_flat_scratch_init 0
		.amdhsa_user_sgpr_kernarg_preload_length 0
		.amdhsa_user_sgpr_kernarg_preload_offset 0
		.amdhsa_user_sgpr_private_segment_size 0
		.amdhsa_uses_dynamic_stack 0
		.amdhsa_system_sgpr_private_segment_wavefront_offset 0
		.amdhsa_system_sgpr_workgroup_id_x 1
		.amdhsa_system_sgpr_workgroup_id_y 1
		.amdhsa_system_sgpr_workgroup_id_z 1
		.amdhsa_system_sgpr_workgroup_info 0
		.amdhsa_system_vgpr_workitem_id 0
		.amdhsa_next_free_vgpr 17
		.amdhsa_next_free_sgpr 20
		.amdhsa_accum_offset 20
		.amdhsa_reserve_vcc 1
		.amdhsa_reserve_flat_scratch 0
		.amdhsa_float_round_mode_32 0
		.amdhsa_float_round_mode_16_64 0
		.amdhsa_float_denorm_mode_32 3
		.amdhsa_float_denorm_mode_16_64 3
		.amdhsa_dx10_clamp 1
		.amdhsa_ieee_mode 1
		.amdhsa_fp16_overflow 0
		.amdhsa_tg_split 0
		.amdhsa_exception_fp_ieee_invalid_op 0
		.amdhsa_exception_fp_denorm_src 0
		.amdhsa_exception_fp_ieee_div_zero 0
		.amdhsa_exception_fp_ieee_overflow 0
		.amdhsa_exception_fp_ieee_underflow 0
		.amdhsa_exception_fp_ieee_inexact 0
		.amdhsa_exception_int_div_zero 0
	.end_amdhsa_kernel
	.section	.text._ZL33flash_attn_stream_k_fixup_uniformILi64ELi1ELi1EEvPfPK15HIP_vector_typeIfLj2EEiiiiiiS1_IjLj3EES5_S5_,"axG",@progbits,_ZL33flash_attn_stream_k_fixup_uniformILi64ELi1ELi1EEvPfPK15HIP_vector_typeIfLj2EEiiiiiiS1_IjLj3EES5_S5_,comdat
.Lfunc_end2:
	.size	_ZL33flash_attn_stream_k_fixup_uniformILi64ELi1ELi1EEvPfPK15HIP_vector_typeIfLj2EEiiiiiiS1_IjLj3EES5_S5_, .Lfunc_end2-_ZL33flash_attn_stream_k_fixup_uniformILi64ELi1ELi1EEvPfPK15HIP_vector_typeIfLj2EEiiiiiiS1_IjLj3EES5_S5_
                                        ; -- End function
	.section	.AMDGPU.csdata,"",@progbits
; Kernel info:
; codeLenInByte = 776
; NumSgprs: 24
; NumVgprs: 17
; NumAgprs: 0
; TotalNumVgprs: 17
; ScratchSize: 0
; MemoryBound: 0
; FloatMode: 240
; IeeeMode: 1
; LDSByteSize: 0 bytes/workgroup (compile time only)
; SGPRBlocks: 2
; VGPRBlocks: 2
; NumSGPRsForWavesPerEU: 24
; NumVGPRsForWavesPerEU: 17
; AccumOffset: 20
; Occupancy: 8
; WaveLimiterHint : 0
; COMPUTE_PGM_RSRC2:SCRATCH_EN: 0
; COMPUTE_PGM_RSRC2:USER_SGPR: 6
; COMPUTE_PGM_RSRC2:TRAP_HANDLER: 0
; COMPUTE_PGM_RSRC2:TGID_X_EN: 1
; COMPUTE_PGM_RSRC2:TGID_Y_EN: 1
; COMPUTE_PGM_RSRC2:TGID_Z_EN: 1
; COMPUTE_PGM_RSRC2:TIDIG_COMP_CNT: 0
; COMPUTE_PGM_RSRC3_GFX90A:ACCUM_OFFSET: 4
; COMPUTE_PGM_RSRC3_GFX90A:TG_SPLIT: 0
	.section	.text._ZL33flash_attn_stream_k_fixup_generalILi64ELi1ELi1EEvPfPK15HIP_vector_typeIfLj2EEiiiiS1_IjLj3EES5_S5_S5_,"axG",@progbits,_ZL33flash_attn_stream_k_fixup_generalILi64ELi1ELi1EEvPfPK15HIP_vector_typeIfLj2EEiiiiS1_IjLj3EES5_S5_S5_,comdat
	.globl	_ZL33flash_attn_stream_k_fixup_generalILi64ELi1ELi1EEvPfPK15HIP_vector_typeIfLj2EEiiiiS1_IjLj3EES5_S5_S5_ ; -- Begin function _ZL33flash_attn_stream_k_fixup_generalILi64ELi1ELi1EEvPfPK15HIP_vector_typeIfLj2EEiiiiS1_IjLj3EES5_S5_S5_
	.p2align	8
	.type	_ZL33flash_attn_stream_k_fixup_generalILi64ELi1ELi1EEvPfPK15HIP_vector_typeIfLj2EEiiiiS1_IjLj3EES5_S5_S5_,@function
_ZL33flash_attn_stream_k_fixup_generalILi64ELi1ELi1EEvPfPK15HIP_vector_typeIfLj2EEiiiiS1_IjLj3EES5_S5_S5_: ; @_ZL33flash_attn_stream_k_fixup_generalILi64ELi1ELi1EEvPfPK15HIP_vector_typeIfLj2EEiiiiS1_IjLj3EES5_S5_S5_
; %bb.0:
	s_load_dwordx4 s[12:15], s[4:5], 0x10
	s_load_dword s9, s[4:5], 0x50
	s_mov_b32 s2, 0
	s_waitcnt lgkmcnt(0)
	s_mul_hi_i32 s3, s15, s6
	s_cmp_lg_u64 s[2:3], 0
	s_mul_i32 s2, s15, s6
	s_cbranch_scc0 .LBB3_21
; %bb.1:
	v_cvt_f32_u32_e32 v1, s9
	v_cvt_f32_ubyte0_e32 v2, 0
	s_sub_u32 s10, 0, s9
	s_subb_u32 s11, 0, 0
	v_madmk_f32 v1, v2, 0x4f800000, v1
	v_rcp_f32_e32 v1, v1
	v_mul_f32_e32 v1, 0x5f7ffffc, v1
	v_mul_f32_e32 v2, 0x2f800000, v1
	v_trunc_f32_e32 v2, v2
	v_madmk_f32 v1, v2, 0xcf800000, v1
	v_cvt_u32_f32_e32 v2, v2
	v_cvt_u32_f32_e32 v1, v1
	v_readfirstlane_b32 s16, v2
	v_readfirstlane_b32 s17, v1
	s_mul_i32 s18, s10, s16
	s_mul_hi_u32 s20, s10, s17
	s_mul_i32 s19, s11, s17
	s_add_i32 s18, s20, s18
	s_add_i32 s18, s18, s19
	s_mul_i32 s21, s10, s17
	s_mul_hi_u32 s19, s17, s18
	s_mul_i32 s20, s17, s18
	s_mul_hi_u32 s17, s17, s21
	s_add_u32 s17, s17, s20
	s_addc_u32 s19, 0, s19
	s_mul_hi_u32 s22, s16, s21
	s_mul_i32 s21, s16, s21
	s_add_u32 s17, s17, s21
	s_mul_hi_u32 s20, s16, s18
	s_addc_u32 s17, s19, s22
	s_addc_u32 s19, s20, 0
	s_mul_i32 s18, s16, s18
	s_add_u32 s17, s17, s18
	s_addc_u32 s18, 0, s19
	v_add_co_u32_e32 v1, vcc, s17, v1
	s_cmp_lg_u64 vcc, 0
	s_addc_u32 s16, s16, s18
	v_readfirstlane_b32 s18, v1
	s_mul_i32 s17, s10, s16
	s_mul_hi_u32 s19, s10, s18
	s_add_i32 s17, s19, s17
	s_mul_i32 s11, s11, s18
	s_add_i32 s17, s17, s11
	s_mul_i32 s10, s10, s18
	s_mul_hi_u32 s19, s16, s10
	s_mul_i32 s20, s16, s10
	s_mul_i32 s22, s18, s17
	s_mul_hi_u32 s10, s18, s10
	s_mul_hi_u32 s21, s18, s17
	s_add_u32 s10, s10, s22
	s_addc_u32 s18, 0, s21
	s_add_u32 s10, s10, s20
	s_mul_hi_u32 s11, s16, s17
	s_addc_u32 s10, s18, s19
	s_addc_u32 s11, s11, 0
	s_mul_i32 s17, s16, s17
	s_add_u32 s10, s10, s17
	s_addc_u32 s11, 0, s11
	v_add_co_u32_e32 v1, vcc, s10, v1
	s_cmp_lg_u64 vcc, 0
	s_addc_u32 s18, s16, s11
	s_ashr_i32 s10, s3, 31
	s_add_u32 s16, s2, s10
	s_mov_b32 s11, s10
	s_addc_u32 s17, s3, s10
	s_xor_b64 s[16:17], s[16:17], s[10:11]
	v_readfirstlane_b32 s20, v1
	s_mul_i32 s19, s16, s18
	s_mul_hi_u32 s21, s16, s20
	s_mul_hi_u32 s3, s16, s18
	s_add_u32 s19, s21, s19
	s_addc_u32 s3, 0, s3
	s_mul_hi_u32 s22, s17, s20
	s_mul_i32 s20, s17, s20
	s_add_u32 s19, s19, s20
	s_mul_hi_u32 s21, s17, s18
	s_addc_u32 s3, s3, s22
	s_addc_u32 s19, s21, 0
	s_mul_i32 s18, s17, s18
	s_add_u32 s3, s3, s18
	s_addc_u32 s18, 0, s19
	s_add_u32 s19, s3, 1
	s_addc_u32 s20, s18, 0
	s_add_u32 s21, s3, 2
	s_mul_i32 s23, s9, s18
	s_mul_hi_u32 s24, s9, s3
	s_addc_u32 s22, s18, 0
	s_add_i32 s24, s24, s23
	s_mul_i32 s23, s9, s3
	v_mov_b32_e32 v1, s23
	v_sub_co_u32_e32 v1, vcc, s16, v1
	s_cmp_lg_u64 vcc, 0
	s_subb_u32 s16, s17, s24
	v_subrev_co_u32_e32 v2, vcc, s9, v1
	s_cmp_lg_u64 vcc, 0
	s_subb_u32 s17, s16, 0
	v_readfirstlane_b32 s23, v2
	s_cmp_ge_u32 s23, s9
	s_cselect_b32 s23, -1, 0
	s_cmp_eq_u32 s17, 0
	s_cselect_b32 s17, s23, -1
	s_cmp_lg_u32 s17, 0
	s_cselect_b32 s17, s22, s20
	v_readfirstlane_b32 s20, v1
	s_cselect_b32 s19, s21, s19
	s_cmp_ge_u32 s20, s9
	s_cselect_b32 s20, -1, 0
	s_cmp_eq_u32 s16, 0
	s_cselect_b32 s16, s20, -1
	s_cmp_lg_u32 s16, 0
	s_cselect_b32 s17, s17, s18
	s_cselect_b32 s16, s19, s3
	s_xor_b64 s[16:17], s[16:17], s[10:11]
	s_sub_u32 s20, s16, s10
	s_load_dwordx4 s[16:19], s[4:5], 0x44
	s_cbranch_execnz .LBB3_3
.LBB3_2:
	v_cvt_f32_u32_e32 v1, s9
	s_sub_i32 s0, 0, s9
	v_rcp_iflag_f32_e32 v1, v1
	v_mul_f32_e32 v1, 0x4f7ffffe, v1
	v_cvt_u32_f32_e32 v1, v1
	v_readfirstlane_b32 s1, v1
	s_mul_i32 s0, s0, s1
	s_mul_hi_u32 s0, s1, s0
	s_add_i32 s1, s1, s0
	s_mul_hi_u32 s0, s2, s1
	s_mul_i32 s3, s0, s9
	s_sub_i32 s2, s2, s3
	s_add_i32 s1, s0, 1
	s_sub_i32 s3, s2, s9
	s_cmp_ge_u32 s2, s9
	s_cselect_b32 s0, s1, s0
	s_cselect_b32 s2, s3, s2
	s_add_i32 s1, s0, 1
	s_cmp_ge_u32 s2, s9
	s_cselect_b32 s20, s1, s0
.LBB3_3:
	s_add_i32 s0, s6, 1
	s_mul_hi_i32 s3, s15, s0
	s_mov_b32 s2, 0
	s_cmp_lg_u64 s[2:3], 0
	s_mul_i32 s2, s15, s0
	s_cbranch_scc0 .LBB3_22
; %bb.4:
	v_cvt_f32_u32_e32 v1, s9
	v_cvt_f32_ubyte0_e32 v2, 0
	s_sub_u32 s10, 0, s9
	s_subb_u32 s11, 0, 0
	v_madmk_f32 v1, v2, 0x4f800000, v1
	v_rcp_f32_e32 v1, v1
	v_mul_f32_e32 v1, 0x5f7ffffc, v1
	v_mul_f32_e32 v2, 0x2f800000, v1
	v_trunc_f32_e32 v2, v2
	v_madmk_f32 v1, v2, 0xcf800000, v1
	v_cvt_u32_f32_e32 v2, v2
	v_cvt_u32_f32_e32 v1, v1
	s_waitcnt lgkmcnt(0)
	v_readfirstlane_b32 s19, v2
	v_readfirstlane_b32 s21, v1
	s_mul_i32 s22, s10, s19
	s_mul_hi_u32 s24, s10, s21
	s_mul_i32 s23, s11, s21
	s_add_i32 s22, s24, s22
	s_add_i32 s22, s22, s23
	s_mul_i32 s25, s10, s21
	s_mul_hi_u32 s23, s21, s22
	s_mul_i32 s24, s21, s22
	s_mul_hi_u32 s21, s21, s25
	s_add_u32 s21, s21, s24
	s_addc_u32 s23, 0, s23
	s_mul_hi_u32 s26, s19, s25
	s_mul_i32 s25, s19, s25
	s_add_u32 s21, s21, s25
	s_mul_hi_u32 s24, s19, s22
	s_addc_u32 s21, s23, s26
	s_addc_u32 s23, s24, 0
	s_mul_i32 s22, s19, s22
	s_add_u32 s21, s21, s22
	s_addc_u32 s22, 0, s23
	v_add_co_u32_e32 v1, vcc, s21, v1
	s_cmp_lg_u64 vcc, 0
	s_addc_u32 s19, s19, s22
	v_readfirstlane_b32 s22, v1
	s_mul_i32 s21, s10, s19
	s_mul_hi_u32 s23, s10, s22
	s_add_i32 s21, s23, s21
	s_mul_i32 s11, s11, s22
	s_add_i32 s21, s21, s11
	s_mul_i32 s10, s10, s22
	s_mul_hi_u32 s23, s19, s10
	s_mul_i32 s24, s19, s10
	s_mul_i32 s26, s22, s21
	s_mul_hi_u32 s10, s22, s10
	s_mul_hi_u32 s25, s22, s21
	s_add_u32 s10, s10, s26
	s_addc_u32 s22, 0, s25
	s_add_u32 s10, s10, s24
	s_mul_hi_u32 s11, s19, s21
	s_addc_u32 s10, s22, s23
	s_addc_u32 s11, s11, 0
	s_mul_i32 s21, s19, s21
	s_add_u32 s10, s10, s21
	s_addc_u32 s11, 0, s11
	v_add_co_u32_e32 v1, vcc, s10, v1
	s_cmp_lg_u64 vcc, 0
	s_addc_u32 s19, s19, s11
	s_ashr_i32 s10, s3, 31
	s_add_u32 s22, s2, s10
	s_mov_b32 s11, s10
	s_addc_u32 s23, s3, s10
	s_xor_b64 s[22:23], s[22:23], s[10:11]
	v_readfirstlane_b32 s21, v1
	s_mul_i32 s11, s22, s19
	s_mul_hi_u32 s24, s22, s21
	s_mul_hi_u32 s3, s22, s19
	s_add_u32 s11, s24, s11
	s_addc_u32 s3, 0, s3
	s_mul_hi_u32 s25, s23, s21
	s_mul_i32 s21, s23, s21
	s_add_u32 s11, s11, s21
	s_mul_hi_u32 s24, s23, s19
	s_addc_u32 s3, s3, s25
	s_addc_u32 s11, s24, 0
	s_mul_i32 s19, s23, s19
	s_add_u32 s3, s3, s19
	s_addc_u32 s11, 0, s11
	s_mul_i32 s11, s9, s11
	s_mul_hi_u32 s24, s9, s3
	s_add_i32 s24, s24, s11
	s_mul_i32 s11, s9, s3
	v_mov_b32_e32 v1, s11
	s_add_u32 s19, s3, 1
	s_add_u32 s21, s3, 2
	v_sub_co_u32_e32 v1, vcc, s22, v1
	s_cmp_lg_u64 vcc, 0
	s_subb_u32 s11, s23, s24
	v_subrev_co_u32_e32 v2, vcc, s9, v1
	s_cmp_lg_u64 vcc, 0
	s_subb_u32 s22, s11, 0
	v_cmp_le_u32_e32 vcc, s9, v2
	s_cmp_eq_u32 s22, 0
	v_cndmask_b32_e64 v2, 0, -1, vcc
	s_cselect_b64 vcc, -1, 0
	v_cndmask_b32_e32 v2, -1, v2, vcc
	v_mov_b32_e32 v3, s19
	v_mov_b32_e32 v4, s21
	v_cmp_ne_u32_e32 vcc, 0, v2
	v_cndmask_b32_e32 v2, v3, v4, vcc
	v_cmp_le_u32_e32 vcc, s9, v1
	s_cmp_eq_u32 s11, 0
	v_cndmask_b32_e64 v1, 0, -1, vcc
	s_cselect_b64 vcc, -1, 0
	v_cndmask_b32_e32 v1, -1, v1, vcc
	v_mov_b32_e32 v3, s3
	v_cmp_ne_u32_e32 vcc, 0, v1
	v_cndmask_b32_e32 v1, v3, v2, vcc
	v_xor_b32_e32 v1, s10, v1
	v_subrev_co_u32_e32 v2, vcc, s10, v1
	s_cbranch_execnz .LBB3_6
.LBB3_5:
	v_cvt_f32_u32_e32 v1, s9
	s_sub_i32 s0, 0, s9
	s_mov_b32 s1, 0
	v_rcp_iflag_f32_e32 v1, v1
	v_mul_f32_e32 v1, 0x4f7ffffe, v1
	v_cvt_u32_f32_e32 v1, v1
	v_readfirstlane_b32 s3, v1
	s_mul_i32 s0, s0, s3
	s_mul_hi_u32 s0, s3, s0
	s_add_i32 s3, s3, s0
	s_mul_hi_u32 s0, s2, s3
	s_mul_i32 s10, s0, s9
	s_sub_i32 s2, s2, s10
	s_add_i32 s3, s0, 1
	s_sub_i32 s10, s2, s9
	s_cmp_ge_u32 s2, s9
	s_cselect_b32 s0, s3, s0
	s_cselect_b32 s2, s10, s2
	s_add_i32 s3, s0, 1
	s_cmp_ge_u32 s2, s9
	s_cselect_b32 s0, s3, s0
	v_pk_mov_b32 v[2:3], s[0:1], s[0:1] op_sel:[0,1]
.LBB3_6:
	s_waitcnt lgkmcnt(0)
	s_mul_hi_u32 s0, s20, s16
	s_add_i32 s0, s0, s20
	v_mul_hi_u32 v1, v2, s16
	s_lshr_b32 s19, s0, s17
	v_add_u32_e32 v1, v1, v2
	s_mul_i32 s0, s19, s18
	v_lshrrev_b32_e32 v1, s17, v1
	s_cmp_eq_u32 s0, s20
	v_cmp_eq_u32_e64 s[0:1], s19, v1
	v_mul_lo_u32 v1, v1, s18
	v_cmp_eq_u32_e32 vcc, s20, v2
	s_cselect_b64 s[10:11], -1, 0
	v_cmp_ne_u32_e64 s[2:3], v1, v2
	s_and_b64 s[0:1], s[0:1], s[2:3]
	s_or_b64 s[2:3], vcc, s[10:11]
	s_or_b64 s[0:1], s[2:3], s[0:1]
	s_and_b64 vcc, exec, s[0:1]
	s_cbranch_vccnz .LBB3_24
; %bb.7:
	s_load_dwordx8 s[24:31], s[4:5], 0x20
	s_load_dword s0, s[4:5], 0x40
	s_mov_b32 s10, 0
	s_waitcnt lgkmcnt(0)
	s_mul_hi_u32 s1, s20, s24
	s_add_i32 s1, s1, s20
	s_lshr_b32 s11, s1, s25
	s_mul_i32 s1, s11, s26
	s_sub_i32 s1, s20, s1
	s_mul_hi_u32 s2, s1, s27
	s_add_i32 s2, s1, s2
	s_lshr_b32 s22, s2, s28
	s_mul_i32 s2, s22, s29
	s_sub_i32 s1, s1, s2
	;; [unrolled: 5-line block ×3, first 2 shown]
	s_mul_hi_u32 s1, s0, s16
	s_add_i32 s0, s0, s1
	s_lshr_b32 s23, s0, s17
	s_add_i32 s23, s23, s7
	s_cmp_lt_i32 s23, s12
	s_cselect_b64 s[0:1], -1, 0
	s_add_i32 s24, s24, s8
	s_cmp_lt_i32 s24, s14
	s_cselect_b64 s[2:3], -1, 0
	s_and_b64 s[0:1], s[0:1], s[2:3]
	s_andn2_b64 vcc, exec, s[0:1]
	s_cbranch_vccnz .LBB3_24
; %bb.8:
	s_load_dwordx4 s[0:3], s[4:5], 0x0
	s_lshl_b32 s4, s9, 2
	s_mov_b32 s5, s10
	s_add_i32 s7, s7, s8
	s_lshl_b64 s[4:5], s[4:5], 2
	s_waitcnt lgkmcnt(0)
	s_add_u32 s8, s2, s4
	s_mul_i32 s11, s11, s12
	s_addc_u32 s21, s3, s5
	s_mul_i32 s22, s22, s14
	s_add_i32 s4, s23, s11
	s_mul_i32 s4, s4, s13
	s_add_i32 s5, s24, s22
	s_add_i32 s5, s5, s4
	v_lshl_or_b32 v2, s5, 6, v0
	v_ashrrev_i32_e32 v3, 31, v2
	v_lshlrev_b64 v[2:3], 2, v[2:3]
	v_mov_b32_e32 v1, s1
	v_add_co_u32_e32 v2, vcc, s0, v2
	v_addc_co_u32_e32 v3, vcc, v1, v3, vcc
	global_load_dword v1, v[2:3], off
	v_cvt_f32_u32_e32 v4, s9
	v_cvt_f32_ubyte0_e32 v5, 0
	s_add_i32 s0, s7, s6
	s_ashr_i32 s1, s0, 31
	v_mac_f32_e32 v4, 0x4f800000, v5
	v_rcp_f32_e32 v4, v4
	v_cvt_f32_u32_e32 v5, s9
	s_lshl_b64 s[0:1], s[0:1], 3
	s_add_u32 s0, s2, s0
	v_mul_f32_e32 v4, 0x5f7ffffc, v4
	v_rcp_iflag_f32_e32 v5, v5
	v_mul_f32_e32 v9, 0x2f800000, v4
	s_addc_u32 s1, s3, s1
	v_trunc_f32_e32 v10, v9
	s_load_dwordx2 s[0:1], s[0:1], 0x0
	v_mac_f32_e32 v4, 0xcf800000, v10
	v_cvt_u32_f32_e32 v9, v4
	v_mul_f32_e32 v4, 0x4f7ffffe, v5
	v_cvt_u32_f32_e32 v10, v10
	v_cvt_u32_f32_e32 v11, v4
	s_add_i32 s13, s6, -1
	s_waitcnt lgkmcnt(0)
	v_mov_b32_e32 v6, s1
	v_mov_b32_e32 v7, s0
	;; [unrolled: 1-line block ×3, first 2 shown]
	s_mov_b32 s6, 0x3fb8aa3b
	s_mov_b32 s12, 0xc2ce8ed0
	;; [unrolled: 1-line block ×4, first 2 shown]
	v_mov_b32_e32 v12, 0x7f800000
	s_mul_hi_i32 s11, s13, s15
	s_cmp_lg_u64 s[10:11], 0
	s_mul_i32 s4, s13, s15
	s_cbranch_scc0 .LBB3_15
.LBB3_9:
	s_sub_u32 s0, 0, s9
	v_readfirstlane_b32 s5, v9
	v_readfirstlane_b32 s24, v10
	s_subb_u32 s1, 0, 0
	s_mul_hi_u32 s23, s0, s5
	s_mul_i32 s25, s0, s24
	s_mul_i32 s22, s1, s5
	s_add_i32 s23, s23, s25
	s_add_i32 s23, s23, s22
	s_mul_i32 s26, s0, s5
	s_mul_hi_u32 s22, s5, s23
	s_mul_i32 s25, s5, s23
	s_mul_hi_u32 s5, s5, s26
	s_add_u32 s5, s5, s25
	s_addc_u32 s22, 0, s22
	s_mul_hi_u32 s27, s24, s26
	s_mul_i32 s26, s24, s26
	s_add_u32 s5, s5, s26
	s_mul_hi_u32 s25, s24, s23
	s_addc_u32 s5, s22, s27
	s_addc_u32 s22, s25, 0
	s_mul_i32 s23, s24, s23
	s_add_u32 s5, s5, s23
	s_addc_u32 s22, 0, s22
	v_add_co_u32_e32 v4, vcc, s5, v9
	s_cmp_lg_u64 vcc, 0
	s_addc_u32 s5, s24, s22
	v_readfirstlane_b32 s23, v4
	s_mul_i32 s22, s0, s5
	s_mul_hi_u32 s24, s0, s23
	s_add_i32 s22, s24, s22
	s_mul_i32 s1, s1, s23
	s_add_i32 s22, s22, s1
	s_mul_i32 s0, s0, s23
	s_mul_hi_u32 s24, s5, s0
	s_mul_i32 s25, s5, s0
	s_mul_i32 s27, s23, s22
	s_mul_hi_u32 s0, s23, s0
	s_mul_hi_u32 s26, s23, s22
	s_add_u32 s0, s0, s27
	s_addc_u32 s23, 0, s26
	s_add_u32 s0, s0, s25
	s_mul_hi_u32 s1, s5, s22
	s_addc_u32 s0, s23, s24
	s_addc_u32 s1, s1, 0
	s_mul_i32 s22, s5, s22
	s_add_u32 s0, s0, s22
	s_addc_u32 s1, 0, s1
	v_add_co_u32_e32 v4, vcc, s0, v4
	s_cmp_lg_u64 vcc, 0
	s_addc_u32 s5, s5, s1
	s_ashr_i32 s0, s11, 31
	s_add_u32 s22, s4, s0
	s_mov_b32 s1, s0
	s_addc_u32 s23, s11, s0
	s_xor_b64 s[22:23], s[22:23], s[0:1]
	v_readfirstlane_b32 s24, v4
	s_mul_i32 s11, s22, s5
	s_mul_hi_u32 s25, s22, s24
	s_mul_hi_u32 s1, s22, s5
	s_add_u32 s11, s25, s11
	s_addc_u32 s1, 0, s1
	s_mul_hi_u32 s26, s23, s24
	s_mul_i32 s24, s23, s24
	s_add_u32 s11, s11, s24
	s_mul_hi_u32 s25, s23, s5
	s_addc_u32 s1, s1, s26
	s_addc_u32 s11, s25, 0
	s_mul_i32 s5, s23, s5
	s_add_u32 s1, s1, s5
	s_addc_u32 s5, 0, s11
	s_mul_i32 s5, s9, s5
	s_mul_hi_u32 s25, s9, s1
	s_add_i32 s25, s25, s5
	s_mul_i32 s5, s9, s1
	v_mov_b32_e32 v4, s5
	s_add_u32 s11, s1, 1
	s_add_u32 s24, s1, 2
	v_sub_co_u32_e32 v4, vcc, s22, v4
	s_cmp_lg_u64 vcc, 0
	s_subb_u32 s5, s23, s25
	v_subrev_co_u32_e32 v5, vcc, s9, v4
	s_cmp_lg_u64 vcc, 0
	s_subb_u32 s22, s5, 0
	v_cmp_le_u32_e32 vcc, s9, v5
	s_cmp_eq_u32 s22, 0
	v_cndmask_b32_e64 v5, 0, -1, vcc
	s_cselect_b64 vcc, -1, 0
	v_cndmask_b32_e32 v5, -1, v5, vcc
	v_mov_b32_e32 v13, s11
	v_mov_b32_e32 v14, s24
	v_cmp_ne_u32_e32 vcc, 0, v5
	v_cndmask_b32_e32 v5, v13, v14, vcc
	v_cmp_le_u32_e32 vcc, s9, v4
	s_cmp_eq_u32 s5, 0
	v_cndmask_b32_e64 v4, 0, -1, vcc
	s_cselect_b64 vcc, -1, 0
	v_cndmask_b32_e32 v4, -1, v4, vcc
	v_mov_b32_e32 v13, s1
	v_cmp_ne_u32_e32 vcc, 0, v4
	v_cndmask_b32_e32 v4, v13, v5, vcc
	v_xor_b32_e32 v4, s0, v4
	v_subrev_co_u32_e32 v4, vcc, s0, v4
	s_cbranch_execnz .LBB3_11
.LBB3_10:
	s_sub_i32 s0, 0, s9
	v_mul_lo_u32 v4, s0, v11
	v_mul_hi_u32 v4, v11, v4
	v_add_u32_e32 v4, v11, v4
	v_mul_hi_u32 v4, s4, v4
	v_mul_lo_u32 v13, v4, s9
	v_sub_u32_e32 v13, s4, v13
	v_add_u32_e32 v5, 1, v4
	v_subrev_u32_e32 v14, s9, v13
	v_cmp_le_u32_e32 vcc, s9, v13
	v_cndmask_b32_e32 v13, v13, v14, vcc
	v_cndmask_b32_e32 v4, v4, v5, vcc
	v_add_u32_e32 v5, 1, v4
	v_cmp_le_u32_e32 vcc, s9, v13
	v_cndmask_b32_e32 v4, v4, v5, vcc
.LBB3_11:
	v_cmp_ne_u32_e32 vcc, v8, v4
	s_cbranch_vccz .LBB3_14
; %bb.12:
	s_add_i32 s22, s13, s7
	v_mul_hi_u32 v5, v4, s16
	s_add_i32 s0, s22, s9
	s_mov_b32 s1, s10
	v_add_u32_e32 v5, v5, v4
	s_lshl_b64 s[0:1], s[0:1], 3
	v_lshrrev_b32_e32 v5, s17, v5
	s_add_u32 s4, s2, s0
	v_mul_lo_u32 v13, v5, s18
	s_addc_u32 s5, s3, s1
	v_cmp_eq_u32_e32 vcc, v13, v4
	v_cmp_gt_u32_e64 s[0:1], s19, v5
	s_or_b64 s[0:1], s[0:1], vcc
	s_and_b64 vcc, exec, s[0:1]
	s_cbranch_vccnz .LBB3_16
; %bb.13:
	s_add_i32 s11, s13, -1
	s_mov_b64 s[0:1], 0
	s_branch .LBB3_17
.LBB3_14:
                                        ; implicit-def: $sgpr0_sgpr1
                                        ; implicit-def: $vgpr14
                                        ; implicit-def: $vgpr5
                                        ; implicit-def: $vgpr13
                                        ; implicit-def: $sgpr11
                                        ; implicit-def: $vgpr4
	s_branch .LBB3_18
.LBB3_15:
                                        ; implicit-def: $vgpr4_vgpr5
	s_branch .LBB3_10
.LBB3_16:
	s_mov_b64 s[0:1], -1
	s_mov_b32 s11, s13
	v_mov_b32_e32 v4, v8
.LBB3_17:
	v_lshl_or_b32 v14, s22, 6, v0
	v_ashrrev_i32_e32 v15, 31, v14
	v_lshlrev_b64 v[14:15], 2, v[14:15]
	v_mov_b32_e32 v5, s21
	v_add_co_u32_e32 v14, vcc, s8, v14
	v_addc_co_u32_e32 v15, vcc, v5, v15, vcc
	global_load_dword v14, v[14:15], off
	s_load_dwordx2 s[4:5], s[4:5], 0x0
	v_max_f32_e32 v5, v7, v7
	s_waitcnt lgkmcnt(0)
	v_max_f32_e64 v13, s4, s4
	v_max_f32_e32 v5, v5, v13
	v_sub_f32_e32 v13, v7, v5
	v_sub_f32_e32 v15, s4, v5
	v_mul_f32_e32 v16, 0x3fb8aa3b, v13
	v_mul_f32_e32 v17, 0x3fb8aa3b, v15
	v_fma_f32 v18, v13, s6, -v16
	v_rndne_f32_e32 v19, v16
	v_fma_f32 v20, v15, s6, -v17
	v_rndne_f32_e32 v21, v17
	v_fmac_f32_e32 v18, 0x32a5705f, v13
	v_sub_f32_e32 v16, v16, v19
	v_fmac_f32_e32 v20, 0x32a5705f, v15
	v_sub_f32_e32 v17, v17, v21
	v_add_f32_e32 v16, v16, v18
	v_cvt_i32_f32_e32 v19, v19
	v_add_f32_e32 v17, v17, v20
	v_exp_f32_e32 v16, v16
	v_cvt_i32_f32_e32 v21, v21
	v_exp_f32_e32 v17, v17
	v_cmp_ngt_f32_e32 vcc, s12, v13
	v_ldexp_f32 v16, v16, v19
	v_cndmask_b32_e32 v16, 0, v16, vcc
	v_ldexp_f32 v17, v17, v21
	v_cmp_ngt_f32_e32 vcc, s12, v15
	v_cndmask_b32_e32 v17, 0, v17, vcc
	v_cmp_nlt_f32_e32 vcc, s14, v13
	v_cndmask_b32_e32 v16, v12, v16, vcc
	v_cmp_nlt_f32_e32 vcc, s14, v15
	v_cndmask_b32_e32 v17, v12, v17, vcc
	v_cmp_le_f32_e32 vcc, s20, v13
	v_cndmask_b32_e32 v16, 0, v16, vcc
	v_cmp_le_f32_e32 vcc, s20, v15
	v_cndmask_b32_e32 v15, 0, v17, vcc
	v_mul_f32_e32 v13, s5, v15
	v_fmac_f32_e32 v13, v6, v16
	s_waitcnt vmcnt(0)
	v_mul_f32_e32 v14, v14, v15
	v_fmac_f32_e32 v14, v1, v16
	s_cbranch_execnz .LBB3_19
.LBB3_18:
	s_add_i32 s11, s13, -1
	s_mov_b64 s[0:1], 0
	v_mov_b32_e32 v4, v8
	v_mov_b32_e32 v13, v6
	;; [unrolled: 1-line block ×3, first 2 shown]
	s_waitcnt vmcnt(0)
	v_mov_b32_e32 v14, v1
.LBB3_19:
	s_andn2_b64 vcc, exec, s[0:1]
	s_cbranch_vccz .LBB3_23
; %bb.20:
	v_mov_b32_e32 v8, v4
	s_mov_b32 s13, s11
	v_mov_b32_e32 v6, v13
	v_mov_b32_e32 v7, v5
	s_waitcnt vmcnt(0)
	v_mov_b32_e32 v1, v14
	s_mul_hi_i32 s11, s13, s15
	s_cmp_lg_u64 s[10:11], 0
	s_mul_i32 s4, s13, s15
	s_cbranch_scc1 .LBB3_9
	s_branch .LBB3_15
.LBB3_21:
                                        ; implicit-def: $sgpr20_sgpr21
	s_load_dwordx4 s[16:19], s[4:5], 0x44
	s_branch .LBB3_2
.LBB3_22:
                                        ; implicit-def: $vgpr2_vgpr3
	s_branch .LBB3_5
.LBB3_23:
	v_div_scale_f32 v0, s[0:1], v13, v13, v14
	s_waitcnt vmcnt(0)
	v_rcp_f32_e32 v1, v0
	v_div_scale_f32 v4, vcc, v14, v13, v14
	v_fma_f32 v5, -v0, v1, 1.0
	v_fmac_f32_e32 v1, v5, v1
	v_mul_f32_e32 v5, v4, v1
	v_fma_f32 v6, -v0, v5, v4
	v_fmac_f32_e32 v5, v6, v1
	v_fma_f32 v0, -v0, v5, v4
	v_div_fmas_f32 v0, v0, v1, v5
	v_div_fixup_f32 v0, v0, v13, v14
	global_store_dword v[2:3], v0, off
.LBB3_24:
	s_endpgm
	.section	.rodata,"a",@progbits
	.p2align	6, 0x0
	.amdhsa_kernel _ZL33flash_attn_stream_k_fixup_generalILi64ELi1ELi1EEvPfPK15HIP_vector_typeIfLj2EEiiiiS1_IjLj3EES5_S5_S5_
		.amdhsa_group_segment_fixed_size 0
		.amdhsa_private_segment_fixed_size 0
		.amdhsa_kernarg_size 336
		.amdhsa_user_sgpr_count 6
		.amdhsa_user_sgpr_private_segment_buffer 1
		.amdhsa_user_sgpr_dispatch_ptr 0
		.amdhsa_user_sgpr_queue_ptr 0
		.amdhsa_user_sgpr_kernarg_segment_ptr 1
		.amdhsa_user_sgpr_dispatch_id 0
		.amdhsa_user_sgpr_flat_scratch_init 0
		.amdhsa_user_sgpr_kernarg_preload_length 0
		.amdhsa_user_sgpr_kernarg_preload_offset 0
		.amdhsa_user_sgpr_private_segment_size 0
		.amdhsa_uses_dynamic_stack 0
		.amdhsa_system_sgpr_private_segment_wavefront_offset 0
		.amdhsa_system_sgpr_workgroup_id_x 1
		.amdhsa_system_sgpr_workgroup_id_y 1
		.amdhsa_system_sgpr_workgroup_id_z 1
		.amdhsa_system_sgpr_workgroup_info 0
		.amdhsa_system_vgpr_workitem_id 0
		.amdhsa_next_free_vgpr 22
		.amdhsa_next_free_sgpr 32
		.amdhsa_accum_offset 24
		.amdhsa_reserve_vcc 1
		.amdhsa_reserve_flat_scratch 0
		.amdhsa_float_round_mode_32 0
		.amdhsa_float_round_mode_16_64 0
		.amdhsa_float_denorm_mode_32 3
		.amdhsa_float_denorm_mode_16_64 3
		.amdhsa_dx10_clamp 1
		.amdhsa_ieee_mode 1
		.amdhsa_fp16_overflow 0
		.amdhsa_tg_split 0
		.amdhsa_exception_fp_ieee_invalid_op 0
		.amdhsa_exception_fp_denorm_src 0
		.amdhsa_exception_fp_ieee_div_zero 0
		.amdhsa_exception_fp_ieee_overflow 0
		.amdhsa_exception_fp_ieee_underflow 0
		.amdhsa_exception_fp_ieee_inexact 0
		.amdhsa_exception_int_div_zero 0
	.end_amdhsa_kernel
	.section	.text._ZL33flash_attn_stream_k_fixup_generalILi64ELi1ELi1EEvPfPK15HIP_vector_typeIfLj2EEiiiiS1_IjLj3EES5_S5_S5_,"axG",@progbits,_ZL33flash_attn_stream_k_fixup_generalILi64ELi1ELi1EEvPfPK15HIP_vector_typeIfLj2EEiiiiS1_IjLj3EES5_S5_S5_,comdat
.Lfunc_end3:
	.size	_ZL33flash_attn_stream_k_fixup_generalILi64ELi1ELi1EEvPfPK15HIP_vector_typeIfLj2EEiiiiS1_IjLj3EES5_S5_S5_, .Lfunc_end3-_ZL33flash_attn_stream_k_fixup_generalILi64ELi1ELi1EEvPfPK15HIP_vector_typeIfLj2EEiiiiS1_IjLj3EES5_S5_S5_
                                        ; -- End function
	.section	.AMDGPU.csdata,"",@progbits
; Kernel info:
; codeLenInByte = 2780
; NumSgprs: 36
; NumVgprs: 22
; NumAgprs: 0
; TotalNumVgprs: 22
; ScratchSize: 0
; MemoryBound: 0
; FloatMode: 240
; IeeeMode: 1
; LDSByteSize: 0 bytes/workgroup (compile time only)
; SGPRBlocks: 4
; VGPRBlocks: 2
; NumSGPRsForWavesPerEU: 36
; NumVGPRsForWavesPerEU: 22
; AccumOffset: 24
; Occupancy: 8
; WaveLimiterHint : 0
; COMPUTE_PGM_RSRC2:SCRATCH_EN: 0
; COMPUTE_PGM_RSRC2:USER_SGPR: 6
; COMPUTE_PGM_RSRC2:TRAP_HANDLER: 0
; COMPUTE_PGM_RSRC2:TGID_X_EN: 1
; COMPUTE_PGM_RSRC2:TGID_Y_EN: 1
; COMPUTE_PGM_RSRC2:TGID_Z_EN: 1
; COMPUTE_PGM_RSRC2:TIDIG_COMP_CNT: 0
; COMPUTE_PGM_RSRC3_GFX90A:ACCUM_OFFSET: 5
; COMPUTE_PGM_RSRC3_GFX90A:TG_SPLIT: 0
	.section	.text._ZL26flash_attn_combine_resultsILi64EEvPKfPK15HIP_vector_typeIfLj2EEPfi,"axG",@progbits,_ZL26flash_attn_combine_resultsILi64EEvPKfPK15HIP_vector_typeIfLj2EEPfi,comdat
	.globl	_ZL26flash_attn_combine_resultsILi64EEvPKfPK15HIP_vector_typeIfLj2EEPfi ; -- Begin function _ZL26flash_attn_combine_resultsILi64EEvPKfPK15HIP_vector_typeIfLj2EEPfi
	.p2align	8
	.type	_ZL26flash_attn_combine_resultsILi64EEvPKfPK15HIP_vector_typeIfLj2EEPfi,@function
_ZL26flash_attn_combine_resultsILi64EEvPKfPK15HIP_vector_typeIfLj2EEPfi: ; @_ZL26flash_attn_combine_resultsILi64EEvPKfPK15HIP_vector_typeIfLj2EEPfi
; %bb.0:
	s_load_dwordx2 s[10:11], s[4:5], 0x20
	s_load_dword s17, s[4:5], 0x18
	s_load_dwordx4 s[0:3], s[4:5], 0x0
	s_load_dwordx2 s[14:15], s[4:5], 0x10
	s_waitcnt lgkmcnt(0)
	s_mul_i32 s4, s10, s8
	s_add_i32 s4, s4, s6
	s_mul_i32 s16, s4, s11
	s_add_i32 s16, s16, s7
	s_lshl_b32 s18, s17, 1
	s_mul_i32 s4, s16, s17
	v_cmp_gt_i32_e32 vcc, s18, v0
	s_and_saveexec_b64 s[6:7], vcc
	s_cbranch_execz .LBB4_13
; %bb.1:
	v_xad_u32 v1, v0, -1, s18
	s_ashr_i32 s5, s4, 31
	v_cmp_lt_u32_e32 vcc, 63, v1
	s_mov_b64 s[10:11], -1
	v_mov_b32_e32 v2, v0
	s_and_saveexec_b64 s[8:9], vcc
	s_cbranch_execz .LBB4_10
; %bb.2:
	v_lshrrev_b32_e32 v6, 6, v1
	s_lshl_b64 s[10:11], s[4:5], 3
	v_add_u32_e32 v2, -1, v6
	s_add_u32 s19, s2, s10
	v_or_b32_e32 v1, 64, v0
	v_lshrrev_b32_e32 v3, 1, v2
	s_addc_u32 s20, s3, s11
	v_add_u32_e32 v7, 1, v3
	v_cmp_lt_u32_e32 vcc, 13, v2
	v_mov_b32_e32 v4, 0
	v_pk_mov_b32 v[2:3], v[0:1], v[0:1] op_sel:[0,1]
	s_and_saveexec_b64 s[10:11], vcc
	s_cbranch_execz .LBB4_6
; %bb.3:
	v_and_b32_e32 v8, -8, v7
	s_mov_b32 s21, 0
	v_lshl_add_u32 v9, v0, 2, 0
	s_mov_b64 s[12:13], 0
	v_mov_b32_e32 v10, s20
	v_mov_b32_e32 v5, 0
	v_pk_mov_b32 v[2:3], v[0:1], v[0:1] op_sel:[0,1]
.LBB4_4:                                ; =>This Inner Loop Header: Depth=1
	v_mov_b32_e32 v4, v2
	v_lshlrev_b64 v[26:27], 2, v[4:5]
	v_add_u32_e32 v12, 0x80, v3
	v_mov_b32_e32 v13, v5
	v_add_co_u32_e32 v26, vcc, s19, v26
	v_lshlrev_b64 v[12:13], 2, v[12:13]
	v_addc_co_u32_e32 v27, vcc, v10, v27, vcc
	v_add_u32_e32 v14, 0x100, v3
	v_mov_b32_e32 v15, v5
	v_add_co_u32_e32 v12, vcc, s19, v12
	v_lshlrev_b64 v[14:15], 2, v[14:15]
	v_addc_co_u32_e32 v13, vcc, v10, v13, vcc
	;; [unrolled: 5-line block ×7, first 2 shown]
	v_mov_b32_e32 v4, v3
	v_add_co_u32_e32 v24, vcc, s19, v24
	v_lshlrev_b64 v[28:29], 2, v[4:5]
	v_addc_co_u32_e32 v25, vcc, v10, v25, vcc
	v_add_u32_e32 v4, 0x80, v2
	v_add_co_u32_e32 v28, vcc, s19, v28
	v_addc_co_u32_e32 v29, vcc, v10, v29, vcc
	global_load_dword v1, v[26:27], off
	v_lshlrev_b64 v[26:27], 2, v[4:5]
	v_add_u32_e32 v4, 0x100, v2
	v_add_co_u32_e32 v26, vcc, s19, v26
	v_addc_co_u32_e32 v27, vcc, v10, v27, vcc
	v_lshlrev_b64 v[30:31], 2, v[4:5]
	v_add_u32_e32 v4, 0x180, v2
	global_load_dword v11, v[28:29], off
	global_load_dword v32, v[26:27], off
	;; [unrolled: 1-line block ×3, first 2 shown]
	v_add_co_u32_e32 v12, vcc, s19, v30
	v_addc_co_u32_e32 v13, vcc, v10, v31, vcc
	v_lshlrev_b64 v[26:27], 2, v[4:5]
	v_add_u32_e32 v4, 0x200, v2
	v_add_co_u32_e32 v26, vcc, s19, v26
	v_addc_co_u32_e32 v27, vcc, v10, v27, vcc
	v_lshlrev_b64 v[28:29], 2, v[4:5]
	v_add_u32_e32 v4, 0x280, v2
	global_load_dword v30, v[12:13], off
	global_load_dword v31, v[14:15], off
	;; [unrolled: 1-line block ×4, first 2 shown]
	v_add_co_u32_e32 v12, vcc, s19, v28
	v_addc_co_u32_e32 v13, vcc, v10, v29, vcc
	v_lshlrev_b64 v[14:15], 2, v[4:5]
	v_add_u32_e32 v4, 0x300, v2
	v_add_co_u32_e32 v14, vcc, s19, v14
	v_addc_co_u32_e32 v15, vcc, v10, v15, vcc
	v_lshlrev_b64 v[16:17], 2, v[4:5]
	v_add_u32_e32 v4, 0x380, v2
	global_load_dword v26, v[12:13], off
	global_load_dword v27, v[18:19], off
	;; [unrolled: 1-line block ×4, first 2 shown]
	v_add_co_u32_e32 v12, vcc, s19, v16
	v_addc_co_u32_e32 v13, vcc, v10, v17, vcc
	v_lshlrev_b64 v[14:15], 2, v[4:5]
	v_add_co_u32_e32 v14, vcc, s19, v14
	v_addc_co_u32_e32 v15, vcc, v10, v15, vcc
	global_load_dword v16, v[12:13], off
	global_load_dword v17, v[22:23], off
	;; [unrolled: 1-line block ×4, first 2 shown]
	v_add_u32_e32 v8, -8, v8
	s_add_i32 s21, s21, 16
	v_cmp_eq_u32_e32 vcc, 0, v8
	v_add_u32_e32 v3, 0x400, v3
	v_mov_b32_e32 v4, s21
	s_or_b64 s[12:13], vcc, s[12:13]
	v_add_u32_e32 v2, 0x400, v2
	s_waitcnt vmcnt(14)
	ds_write2st64_b32 v9, v1, v11 offset1:1
	s_waitcnt vmcnt(12)
	ds_write2st64_b32 v9, v32, v33 offset0:2 offset1:3
	s_waitcnt vmcnt(10)
	ds_write2st64_b32 v9, v30, v31 offset0:4 offset1:5
	;; [unrolled: 2-line block ×7, first 2 shown]
	v_add_u32_e32 v9, 0x1000, v9
	s_andn2_b64 exec, exec, s[12:13]
	s_cbranch_execnz .LBB4_4
; %bb.5:
	s_or_b64 exec, exec, s[12:13]
.LBB4_6:
	s_or_b64 exec, exec, s[10:11]
	v_and_b32_e32 v1, 7, v7
	v_cmp_ne_u32_e32 vcc, 0, v1
	s_and_saveexec_b64 s[10:11], vcc
	s_cbranch_execz .LBB4_9
; %bb.7:
	v_lshlrev_b32_e32 v5, 2, v0
	v_lshl_or_b32 v4, v4, 8, v5
	v_add_u32_e32 v7, 0, v4
	s_mov_b64 s[12:13], 0
	v_mov_b32_e32 v8, s20
	v_mov_b32_e32 v5, 0
.LBB4_8:                                ; =>This Inner Loop Header: Depth=1
	v_mov_b32_e32 v4, v2
	v_lshlrev_b64 v[10:11], 2, v[4:5]
	v_mov_b32_e32 v4, v3
	v_add_co_u32_e32 v10, vcc, s19, v10
	v_addc_co_u32_e32 v11, vcc, v8, v11, vcc
	v_lshlrev_b64 v[12:13], 2, v[4:5]
	v_add_co_u32_e32 v12, vcc, s19, v12
	v_addc_co_u32_e32 v13, vcc, v8, v13, vcc
	global_load_dword v4, v[10:11], off
	global_load_dword v9, v[12:13], off
	v_add_u32_e32 v1, -1, v1
	v_cmp_eq_u32_e32 vcc, 0, v1
	v_add_u32_e32 v2, 0x80, v2
	v_add_u32_e32 v3, 0x80, v3
	s_or_b64 s[12:13], vcc, s[12:13]
	s_waitcnt vmcnt(0)
	ds_write2st64_b32 v7, v4, v9 offset1:1
	v_add_u32_e32 v7, 0x200, v7
	s_andn2_b64 exec, exec, s[12:13]
	s_cbranch_execnz .LBB4_8
.LBB4_9:
	s_or_b64 exec, exec, s[10:11]
	v_add_u32_e32 v1, 1, v6
	v_and_b32_e32 v3, 0x7fffffe, v1
	v_cmp_ne_u32_e32 vcc, v1, v3
	v_lshl_or_b32 v2, v3, 6, v0
	s_orn2_b64 s[10:11], vcc, exec
.LBB4_10:
	s_or_b64 exec, exec, s[8:9]
	s_and_b64 exec, exec, s[10:11]
	s_cbranch_execz .LBB4_13
; %bb.11:
	s_lshl_b64 s[8:9], s[4:5], 3
	v_mov_b32_e32 v3, 0
	s_add_u32 s2, s2, s8
	v_lshlrev_b64 v[4:5], 2, v[2:3]
	s_addc_u32 s3, s3, s9
	v_mov_b32_e32 v1, s3
	v_add_co_u32_e32 v4, vcc, s2, v4
	v_addc_co_u32_e32 v5, vcc, v1, v5, vcc
	v_lshl_add_u32 v1, v2, 2, 0
	s_mov_b64 s[2:3], 0
.LBB4_12:                               ; =>This Inner Loop Header: Depth=1
	global_load_dword v3, v[4:5], off
	v_add_co_u32_e32 v4, vcc, 0x100, v4
	v_add_u32_e32 v2, 64, v2
	v_addc_co_u32_e32 v5, vcc, 0, v5, vcc
	v_cmp_le_i32_e32 vcc, s18, v2
	s_or_b64 s[2:3], vcc, s[2:3]
	s_waitcnt vmcnt(0)
	ds_write_b32 v1, v3
	v_add_u32_e32 v1, 0x100, v1
	s_andn2_b64 exec, exec, s[2:3]
	s_cbranch_execnz .LBB4_12
.LBB4_13:
	s_or_b64 exec, exec, s[6:7]
	v_mov_b32_e32 v1, 0
	s_waitcnt lgkmcnt(0)
	; wave barrier
	s_waitcnt lgkmcnt(0)
	ds_read_b32 v1, v1
	s_cmp_lt_i32 s17, 2
	s_cbranch_scc1 .LBB4_21
; %bb.14:
	s_add_i32 s2, s17, -1
	s_add_i32 s3, s17, -2
	s_cmp_lt_u32 s3, 7
	s_cbranch_scc1 .LBB4_18
; %bb.15:
	s_mov_b32 s6, 0
	s_add_i32 s3, 0, 8
	s_and_b32 s5, s2, -8
.LBB4_16:                               ; =>This Inner Loop Header: Depth=1
	v_mov_b32_e32 v8, s3
	ds_read2_b32 v[2:3], v8 offset1:2
	ds_read2_b32 v[4:5], v8 offset0:4 offset1:6
	ds_read2_b32 v[6:7], v8 offset0:8 offset1:10
	;; [unrolled: 1-line block ×3, first 2 shown]
	s_mov_b32 s7, s6
	s_waitcnt lgkmcnt(3)
	v_max3_f32 v1, v1, v2, v3
	s_waitcnt lgkmcnt(2)
	v_max3_f32 v1, v1, v4, v5
	s_add_i32 s3, s3, 64
	s_add_i32 s6, s6, 8
	s_waitcnt lgkmcnt(1)
	v_max3_f32 v1, v1, v6, v7
	s_cmp_eq_u32 s5, s6
	s_waitcnt lgkmcnt(0)
	v_max3_f32 v1, v1, v8, v9
	s_cbranch_scc0 .LBB4_16
; %bb.17:
	s_add_i32 s3, s7, 9
	s_and_b32 s2, s2, 7
	s_cmp_eq_u32 s2, 0
	s_cbranch_scc0 .LBB4_19
	s_branch .LBB4_21
.LBB4_18:
	s_mov_b32 s3, 1
	s_and_b32 s2, s2, 7
	s_cmp_eq_u32 s2, 0
	s_cbranch_scc1 .LBB4_21
.LBB4_19:
	s_lshl_b32 s3, s3, 3
	s_add_i32 s3, s3, 0
.LBB4_20:                               ; =>This Inner Loop Header: Depth=1
	v_mov_b32_e32 v2, s3
	ds_read_b32 v2, v2
	s_waitcnt lgkmcnt(1)
	v_max_f32_e32 v1, v1, v1
	s_add_i32 s3, s3, 8
	s_add_i32 s2, s2, -1
	s_cmp_lg_u32 s2, 0
	s_waitcnt lgkmcnt(0)
	v_max_f32_e32 v2, v2, v2
	v_max_f32_e32 v1, v1, v2
	s_cbranch_scc1 .LBB4_20
.LBB4_21:
	s_cmp_lt_i32 s17, 1
	s_cbranch_scc1 .LBB4_26
; %bb.22:
	s_lshl_b32 s2, s4, 6
	s_ashr_i32 s3, s2, 31
	s_lshl_b64 s[2:3], s[2:3], 2
	s_add_u32 s18, s0, s2
	s_addc_u32 s19, s1, s3
	s_cmp_lt_u32 s17, 8
	v_mov_b32_e32 v6, 0
	s_cbranch_scc1 .LBB4_27
; %bb.23:
	s_and_b32 s20, s17, 0x7ffffff8
	v_or_b32_e32 v2, 0x1c0, v0
	s_mov_b32 s21, 0
	v_mov_b32_e32 v5, 0
	s_mov_b32 s22, 0x3fb8aa3b
	s_mov_b32 s23, 0xc2ce8ed0
	;; [unrolled: 1-line block ×3, first 2 shown]
	v_mov_b32_e32 v8, 0x7f800000
	v_mov_b32_e32 v9, s19
	s_mov_b32 s25, 0
	v_mov_b32_e32 v7, 0
	v_mov_b32_e32 v6, 0
.LBB4_24:                               ; =>This Inner Loop Header: Depth=1
	v_add_u32_e32 v4, 0xfffffe40, v2
	v_lshlrev_b64 v[26:27], 2, v[4:5]
	v_mov_b32_e32 v3, v5
	v_add_co_u32_e32 v26, vcc, s18, v26
	v_lshlrev_b64 v[28:29], 2, v[2:3]
	v_addc_co_u32_e32 v27, vcc, v9, v27, vcc
	v_add_u32_e32 v4, 0xfffffe80, v2
	v_add_co_u32_e32 v28, vcc, s18, v28
	v_mov_b32_e32 v22, s21
	v_lshlrev_b64 v[30:31], 2, v[4:5]
	v_addc_co_u32_e32 v29, vcc, v9, v29, vcc
	ds_read2_b64 v[10:13], v22 offset1:1
	ds_read2_b64 v[14:17], v22 offset0:2 offset1:3
	ds_read2_b64 v[18:21], v22 offset0:4 offset1:5
	;; [unrolled: 1-line block ×3, first 2 shown]
	v_add_u32_e32 v4, 0xfffffec0, v2
	global_load_dword v3, v[26:27], off
	v_add_co_u32_e32 v26, vcc, s18, v30
	v_addc_co_u32_e32 v27, vcc, v9, v31, vcc
	v_lshlrev_b64 v[30:31], 2, v[4:5]
	v_add_u32_e32 v4, 0xffffff00, v2
	v_add_co_u32_e32 v30, vcc, s18, v30
	v_addc_co_u32_e32 v31, vcc, v9, v31, vcc
	v_lshlrev_b64 v[32:33], 2, v[4:5]
	v_add_u32_e32 v4, 0xffffff40, v2
	global_load_dword v34, v[26:27], off
	global_load_dword v35, v[30:31], off
	v_add_co_u32_e32 v26, vcc, s18, v32
	v_addc_co_u32_e32 v27, vcc, v9, v33, vcc
	v_lshlrev_b64 v[30:31], 2, v[4:5]
	v_add_u32_e32 v4, 0xffffff80, v2
	v_add_co_u32_e32 v30, vcc, s18, v30
	v_addc_co_u32_e32 v31, vcc, v9, v31, vcc
	v_lshlrev_b64 v[32:33], 2, v[4:5]
	global_load_dword v36, v[26:27], off
	v_subrev_u32_e32 v4, 64, v2
	global_load_dword v28, v[28:29], off
	v_add_co_u32_e32 v26, vcc, s18, v32
	v_addc_co_u32_e32 v27, vcc, v9, v33, vcc
	global_load_dword v42, v[30:31], off
	s_waitcnt lgkmcnt(3)
	v_sub_f32_e32 v12, v12, v1
	global_load_dword v26, v[26:27], off
	v_lshlrev_b64 v[30:31], 2, v[4:5]
	v_add_co_u32_e32 v30, vcc, s18, v30
	v_addc_co_u32_e32 v31, vcc, v9, v31, vcc
	global_load_dword v30, v[30:31], off
	s_waitcnt lgkmcnt(2)
	v_sub_f32_e32 v14, v14, v1
	v_sub_f32_e32 v10, v10, v1
	v_mul_f32_e32 v38, 0x3fb8aa3b, v12
	v_mul_f32_e32 v39, 0x3fb8aa3b, v14
	s_waitcnt lgkmcnt(1)
	v_sub_f32_e32 v18, v18, v1
	s_waitcnt lgkmcnt(0)
	v_sub_f32_e32 v22, v22, v1
	v_mul_f32_e32 v37, 0x3fb8aa3b, v10
	v_fma_f32 v45, v12, s22, -v38
	v_rndne_f32_e32 v46, v38
	v_fma_f32 v47, v14, s22, -v39
	v_rndne_f32_e32 v48, v39
	v_sub_f32_e32 v16, v16, v1
	v_sub_f32_e32 v20, v20, v1
	v_mul_f32_e32 v41, 0x3fb8aa3b, v18
	v_mul_f32_e32 v32, 0x3fb8aa3b, v22
	v_fma_f32 v33, v10, s22, -v37
	v_rndne_f32_e32 v44, v37
	v_fmac_f32_e32 v45, 0x32a5705f, v12
	v_sub_f32_e32 v38, v38, v46
	v_fmac_f32_e32 v47, 0x32a5705f, v14
	v_sub_f32_e32 v39, v39, v48
	v_mul_f32_e32 v40, 0x3fb8aa3b, v16
	v_mul_f32_e32 v43, 0x3fb8aa3b, v20
	v_fma_f32 v27, v18, s22, -v41
	v_rndne_f32_e32 v31, v41
	v_fmac_f32_e32 v33, 0x32a5705f, v10
	v_sub_f32_e32 v37, v37, v44
	v_add_f32_e32 v38, v38, v45
	v_fma_f32 v45, v22, s22, -v32
	v_add_f32_e32 v39, v39, v47
	v_rndne_f32_e32 v47, v32
	v_fma_f32 v49, v16, s22, -v40
	v_rndne_f32_e32 v50, v40
	v_fma_f32 v29, v20, s22, -v43
	v_add_f32_e32 v33, v37, v33
	v_rndne_f32_e32 v37, v43
	v_fmac_f32_e32 v27, 0x32a5705f, v18
	v_sub_f32_e32 v41, v41, v31
	v_fmac_f32_e32 v45, 0x32a5705f, v22
	v_sub_f32_e32 v32, v32, v47
	;; [unrolled: 2-line block ×3, first 2 shown]
	v_add_f32_e32 v27, v41, v27
	v_cvt_i32_f32_e32 v44, v44
	v_fmac_f32_e32 v29, 0x32a5705f, v20
	v_sub_f32_e32 v43, v43, v37
	v_add_f32_e32 v32, v32, v45
	v_exp_f32_e32 v33, v33
	v_add_f32_e32 v40, v40, v49
	v_cvt_i32_f32_e32 v46, v46
	v_cvt_i32_f32_e32 v31, v31
	;; [unrolled: 1-line block ×3, first 2 shown]
	v_add_f32_e32 v29, v43, v29
	v_exp_f32_e32 v38, v38
	v_exp_f32_e32 v27, v27
	;; [unrolled: 1-line block ×3, first 2 shown]
	v_sub_f32_e32 v24, v24, v1
	v_cvt_i32_f32_e32 v48, v48
	v_cvt_i32_f32_e32 v50, v50
	v_cvt_i32_f32_e32 v37, v37
	v_exp_f32_e32 v39, v39
	v_exp_f32_e32 v40, v40
	;; [unrolled: 1-line block ×3, first 2 shown]
	v_mul_f32_e32 v4, 0x3fb8aa3b, v24
	v_fma_f32 v49, v24, s22, -v4
	v_rndne_f32_e32 v41, v4
	v_ldexp_f32 v33, v33, v44
	v_cmp_ngt_f32_e64 s[12:13], s23, v10
	v_fmac_f32_e32 v49, 0x32a5705f, v24
	v_sub_f32_e32 v4, v4, v41
	v_ldexp_f32 v38, v38, v46
	v_cmp_ngt_f32_e32 vcc, s23, v12
	v_ldexp_f32 v27, v27, v31
	v_ldexp_f32 v31, v32, v47
	v_cndmask_b32_e64 v32, 0, v33, s[12:13]
	v_cmp_nlt_f32_e64 s[12:13], s24, v10
	v_add_f32_e32 v4, v4, v49
	v_ldexp_f32 v39, v39, v48
	v_cmp_ngt_f32_e64 s[0:1], s23, v14
	v_ldexp_f32 v40, v40, v50
	v_cmp_ngt_f32_e64 s[2:3], s23, v16
	v_cmp_ngt_f32_e64 s[4:5], s23, v18
	v_ldexp_f32 v29, v29, v37
	v_cmp_ngt_f32_e64 s[6:7], s23, v20
	v_cmp_ngt_f32_e64 s[8:9], s23, v22
	v_cndmask_b32_e32 v33, 0, v38, vcc
	v_cmp_nlt_f32_e32 vcc, s24, v12
	v_cndmask_b32_e64 v10, v8, v32, s[12:13]
	v_cvt_i32_f32_e32 v41, v41
	v_exp_f32_e32 v4, v4
	v_cndmask_b32_e64 v12, 0, v39, s[0:1]
	v_cmp_nlt_f32_e64 s[0:1], s24, v14
	v_cndmask_b32_e64 v14, 0, v40, s[2:3]
	v_cmp_nlt_f32_e64 s[2:3], s24, v16
	;; [unrolled: 2-line block ×5, first 2 shown]
	v_cndmask_b32_e32 v22, v8, v33, vcc
	v_fmac_f32_e32 v7, v10, v11
	s_waitcnt vmcnt(7)
	v_fmac_f32_e32 v6, v3, v10
	v_cndmask_b32_e64 v12, v8, v12, s[0:1]
	v_fmac_f32_e32 v7, v22, v13
	s_waitcnt vmcnt(6)
	v_fmac_f32_e32 v6, v34, v22
	v_cndmask_b32_e64 v14, v8, v14, s[2:3]
	;; [unrolled: 4-line block ×3, first 2 shown]
	v_fmac_f32_e32 v7, v14, v17
	s_waitcnt vmcnt(4)
	v_fmac_f32_e32 v6, v36, v14
	v_ldexp_f32 v4, v4, v41
	v_cmp_ngt_f32_e64 s[10:11], s23, v24
	v_cndmask_b32_e64 v18, v8, v18, s[6:7]
	v_fmac_f32_e32 v7, v16, v19
	s_waitcnt vmcnt(2)
	v_fmac_f32_e32 v6, v42, v16
	v_cndmask_b32_e64 v4, 0, v4, s[10:11]
	v_cmp_nlt_f32_e64 s[10:11], s24, v24
	v_cndmask_b32_e64 v20, v8, v20, s[8:9]
	v_fmac_f32_e32 v7, v18, v21
	s_waitcnt vmcnt(1)
	v_fmac_f32_e32 v6, v26, v18
	s_add_i32 s25, s25, 8
	s_add_i32 s21, s21, 64
	v_cndmask_b32_e64 v4, v8, v4, s[10:11]
	v_fmac_f32_e32 v7, v20, v23
	s_waitcnt vmcnt(0)
	v_fmac_f32_e32 v6, v30, v20
	s_cmp_eq_u32 s20, s25
	v_add_u32_e32 v2, 0x200, v2
	v_fmac_f32_e32 v7, v4, v25
	v_fmac_f32_e32 v6, v28, v4
	s_cbranch_scc0 .LBB4_24
; %bb.25:
	s_and_b32 s0, s17, 7
	s_cmp_eq_u32 s0, 0
	s_cbranch_scc0 .LBB4_28
	s_branch .LBB4_30
.LBB4_26:
	s_waitcnt lgkmcnt(0)
	v_mov_b32_e32 v1, 0x7fc00000
	s_branch .LBB4_31
.LBB4_27:
	s_mov_b32 s20, 0
	v_mov_b32_e32 v7, 0
	s_and_b32 s0, s17, 7
	s_cmp_eq_u32 s0, 0
	s_cbranch_scc1 .LBB4_30
.LBB4_28:
	s_lshl_b32 s1, s20, 3
	v_lshl_or_b32 v2, s20, 6, v0
	s_add_i32 s1, s1, 0
	s_mov_b32 s2, 0x3fb8aa3b
	s_mov_b32 s3, 0xc2ce8ed0
	;; [unrolled: 1-line block ×3, first 2 shown]
	v_mov_b32_e32 v4, 0x7f800000
	v_mov_b32_e32 v3, 0
	;; [unrolled: 1-line block ×3, first 2 shown]
.LBB4_29:                               ; =>This Inner Loop Header: Depth=1
	v_lshlrev_b64 v[8:9], 2, v[2:3]
	v_add_co_u32_e32 v8, vcc, s18, v8
	v_addc_co_u32_e32 v9, vcc, v5, v9, vcc
	global_load_dword v10, v[8:9], off
	v_mov_b32_e32 v8, s1
	ds_read_b64 v[8:9], v8
	s_add_i32 s1, s1, 8
	s_add_i32 s0, s0, -1
	v_add_u32_e32 v2, 64, v2
	s_cmp_lg_u32 s0, 0
	s_waitcnt lgkmcnt(0)
	v_sub_f32_e32 v8, v8, v1
	v_mul_f32_e32 v11, 0x3fb8aa3b, v8
	v_fma_f32 v12, v8, s2, -v11
	v_rndne_f32_e32 v13, v11
	v_fmac_f32_e32 v12, 0x32a5705f, v8
	v_sub_f32_e32 v11, v11, v13
	v_add_f32_e32 v11, v11, v12
	v_cvt_i32_f32_e32 v13, v13
	v_exp_f32_e32 v11, v11
	v_cmp_ngt_f32_e32 vcc, s3, v8
	v_ldexp_f32 v11, v11, v13
	v_cndmask_b32_e32 v11, 0, v11, vcc
	v_cmp_nlt_f32_e32 vcc, s4, v8
	v_cndmask_b32_e32 v8, v4, v11, vcc
	v_fmac_f32_e32 v7, v8, v9
	s_waitcnt vmcnt(0)
	v_fmac_f32_e32 v6, v10, v8
	s_cbranch_scc1 .LBB4_29
.LBB4_30:
	s_waitcnt lgkmcnt(0)
	v_div_scale_f32 v1, s[0:1], v7, v7, v6
	v_rcp_f32_e32 v2, v1
	v_div_scale_f32 v3, vcc, v6, v7, v6
	v_fma_f32 v4, -v1, v2, 1.0
	v_fmac_f32_e32 v2, v4, v2
	v_mul_f32_e32 v4, v3, v2
	v_fma_f32 v5, -v1, v4, v3
	v_fmac_f32_e32 v4, v5, v2
	v_fma_f32 v1, -v1, v4, v3
	v_div_fmas_f32 v1, v1, v2, v4
	v_div_fixup_f32 v1, v1, v7, v6
.LBB4_31:
	s_lshl_b32 s0, s16, 6
	s_ashr_i32 s1, s0, 31
	s_lshl_b64 s[0:1], s[0:1], 2
	s_add_u32 s0, s14, s0
	s_addc_u32 s1, s15, s1
	v_lshlrev_b32_e32 v0, 2, v0
	global_store_dword v0, v1, s[0:1]
	s_endpgm
	.section	.rodata,"a",@progbits
	.p2align	6, 0x0
	.amdhsa_kernel _ZL26flash_attn_combine_resultsILi64EEvPKfPK15HIP_vector_typeIfLj2EEPfi
		.amdhsa_group_segment_fixed_size 0
		.amdhsa_private_segment_fixed_size 0
		.amdhsa_kernarg_size 288
		.amdhsa_user_sgpr_count 6
		.amdhsa_user_sgpr_private_segment_buffer 1
		.amdhsa_user_sgpr_dispatch_ptr 0
		.amdhsa_user_sgpr_queue_ptr 0
		.amdhsa_user_sgpr_kernarg_segment_ptr 1
		.amdhsa_user_sgpr_dispatch_id 0
		.amdhsa_user_sgpr_flat_scratch_init 0
		.amdhsa_user_sgpr_kernarg_preload_length 0
		.amdhsa_user_sgpr_kernarg_preload_offset 0
		.amdhsa_user_sgpr_private_segment_size 0
		.amdhsa_uses_dynamic_stack 0
		.amdhsa_system_sgpr_private_segment_wavefront_offset 0
		.amdhsa_system_sgpr_workgroup_id_x 1
		.amdhsa_system_sgpr_workgroup_id_y 1
		.amdhsa_system_sgpr_workgroup_id_z 1
		.amdhsa_system_sgpr_workgroup_info 0
		.amdhsa_system_vgpr_workitem_id 0
		.amdhsa_next_free_vgpr 51
		.amdhsa_next_free_sgpr 26
		.amdhsa_accum_offset 52
		.amdhsa_reserve_vcc 1
		.amdhsa_reserve_flat_scratch 0
		.amdhsa_float_round_mode_32 0
		.amdhsa_float_round_mode_16_64 0
		.amdhsa_float_denorm_mode_32 3
		.amdhsa_float_denorm_mode_16_64 3
		.amdhsa_dx10_clamp 1
		.amdhsa_ieee_mode 1
		.amdhsa_fp16_overflow 0
		.amdhsa_tg_split 0
		.amdhsa_exception_fp_ieee_invalid_op 0
		.amdhsa_exception_fp_denorm_src 0
		.amdhsa_exception_fp_ieee_div_zero 0
		.amdhsa_exception_fp_ieee_overflow 0
		.amdhsa_exception_fp_ieee_underflow 0
		.amdhsa_exception_fp_ieee_inexact 0
		.amdhsa_exception_int_div_zero 0
	.end_amdhsa_kernel
	.section	.text._ZL26flash_attn_combine_resultsILi64EEvPKfPK15HIP_vector_typeIfLj2EEPfi,"axG",@progbits,_ZL26flash_attn_combine_resultsILi64EEvPKfPK15HIP_vector_typeIfLj2EEPfi,comdat
.Lfunc_end4:
	.size	_ZL26flash_attn_combine_resultsILi64EEvPKfPK15HIP_vector_typeIfLj2EEPfi, .Lfunc_end4-_ZL26flash_attn_combine_resultsILi64EEvPKfPK15HIP_vector_typeIfLj2EEPfi
                                        ; -- End function
	.section	.AMDGPU.csdata,"",@progbits
; Kernel info:
; codeLenInByte = 3028
; NumSgprs: 30
; NumVgprs: 51
; NumAgprs: 0
; TotalNumVgprs: 51
; ScratchSize: 0
; MemoryBound: 0
; FloatMode: 240
; IeeeMode: 1
; LDSByteSize: 0 bytes/workgroup (compile time only)
; SGPRBlocks: 3
; VGPRBlocks: 6
; NumSGPRsForWavesPerEU: 30
; NumVGPRsForWavesPerEU: 51
; AccumOffset: 52
; Occupancy: 8
; WaveLimiterHint : 0
; COMPUTE_PGM_RSRC2:SCRATCH_EN: 0
; COMPUTE_PGM_RSRC2:USER_SGPR: 6
; COMPUTE_PGM_RSRC2:TRAP_HANDLER: 0
; COMPUTE_PGM_RSRC2:TGID_X_EN: 1
; COMPUTE_PGM_RSRC2:TGID_Y_EN: 1
; COMPUTE_PGM_RSRC2:TGID_Z_EN: 1
; COMPUTE_PGM_RSRC2:TIDIG_COMP_CNT: 0
; COMPUTE_PGM_RSRC3_GFX90A:ACCUM_OFFSET: 12
; COMPUTE_PGM_RSRC3_GFX90A:TG_SPLIT: 0
	.text
	.p2align	2                               ; -- Begin function __ockl_printf_append_string_n
	.type	__ockl_printf_append_string_n,@function
__ockl_printf_append_string_n:          ; @__ockl_printf_append_string_n
; %bb.0:
	s_waitcnt vmcnt(0) expcnt(0) lgkmcnt(0)
	v_mov_b32_e32 v7, v3
	v_mov_b32_e32 v6, v2
	;; [unrolled: 1-line block ×3, first 2 shown]
	s_mov_b64 s[6:7], 0
	v_cmp_ne_u64_e32 vcc, 0, v[6:7]
	v_mbcnt_lo_u32_b32 v2, -1, 0
	s_and_saveexec_b64 s[4:5], vcc
	s_xor_b64 s[10:11], exec, s[4:5]
	s_cbranch_execz .LBB5_86
; %bb.1:
	s_load_dwordx2 s[12:13], s[8:9], 0x50
	v_and_b32_e32 v28, 2, v3
	s_mov_b32 s22, 0
	v_mov_b32_e32 v31, 0
	v_and_b32_e32 v0, -3, v3
	v_mbcnt_hi_u32_b32 v32, -1, v2
	s_movk_i32 s23, 0xff1f
	v_mov_b32_e32 v10, 2
	v_mov_b32_e32 v11, 1
	s_branch .LBB5_3
.LBB5_2:                                ;   in Loop: Header=BB5_3 Depth=1
	s_or_b64 exec, exec, s[16:17]
	v_sub_co_u32_e32 v4, vcc, v4, v34
	v_subb_co_u32_e32 v5, vcc, v5, v35, vcc
	v_cmp_eq_u64_e32 vcc, 0, v[4:5]
	s_or_b64 s[6:7], vcc, s[6:7]
	v_add_co_u32_e32 v6, vcc, v6, v34
	v_addc_co_u32_e32 v7, vcc, v7, v35, vcc
	s_andn2_b64 exec, exec, s[6:7]
	s_cbranch_execz .LBB5_85
.LBB5_3:                                ; =>This Loop Header: Depth=1
                                        ;     Child Loop BB5_6 Depth 2
                                        ;     Child Loop BB5_14 Depth 2
                                        ;     Child Loop BB5_22 Depth 2
                                        ;     Child Loop BB5_30 Depth 2
                                        ;     Child Loop BB5_38 Depth 2
                                        ;     Child Loop BB5_46 Depth 2
                                        ;     Child Loop BB5_54 Depth 2
                                        ;     Child Loop BB5_62 Depth 2
                                        ;     Child Loop BB5_70 Depth 2
                                        ;     Child Loop BB5_79 Depth 2
                                        ;     Child Loop BB5_84 Depth 2
	v_cmp_gt_u64_e32 vcc, 56, v[4:5]
	v_cndmask_b32_e32 v35, 0, v5, vcc
	v_cndmask_b32_e32 v34, 56, v4, vcc
	v_cmp_gt_u64_e32 vcc, 8, v[4:5]
                                        ; implicit-def: $vgpr2_vgpr3
                                        ; implicit-def: $sgpr14
	s_and_saveexec_b64 s[4:5], vcc
	s_xor_b64 s[4:5], exec, s[4:5]
	s_cbranch_execz .LBB5_9
; %bb.4:                                ;   in Loop: Header=BB5_3 Depth=1
	s_mov_b64 s[16:17], 0
	v_cmp_ne_u64_e32 vcc, 0, v[4:5]
	s_waitcnt vmcnt(0)
	v_pk_mov_b32 v[2:3], 0, 0
	s_and_saveexec_b64 s[14:15], vcc
	s_cbranch_execz .LBB5_8
; %bb.5:                                ;   in Loop: Header=BB5_3 Depth=1
	v_lshlrev_b64 v[8:9], 3, v[34:35]
	v_pk_mov_b32 v[2:3], 0, 0
	v_pk_mov_b32 v[12:13], v[6:7], v[6:7] op_sel:[0,1]
	s_mov_b64 s[18:19], 0
.LBB5_6:                                ;   Parent Loop BB5_3 Depth=1
                                        ; =>  This Inner Loop Header: Depth=2
	flat_load_ubyte v9, v[12:13]
	v_mov_b32_e32 v15, s22
	v_add_co_u32_e32 v12, vcc, 1, v12
	v_addc_co_u32_e32 v13, vcc, 0, v13, vcc
	s_waitcnt vmcnt(0) lgkmcnt(0)
	v_and_b32_e32 v14, 0xffff, v9
	v_lshlrev_b64 v[14:15], s18, v[14:15]
	s_add_u32 s18, s18, 8
	s_addc_u32 s19, s19, 0
	v_cmp_eq_u32_e32 vcc, s18, v8
	v_or_b32_e32 v3, v15, v3
	s_or_b64 s[16:17], vcc, s[16:17]
	v_or_b32_e32 v2, v14, v2
	s_andn2_b64 exec, exec, s[16:17]
	s_cbranch_execnz .LBB5_6
; %bb.7:                                ;   in Loop: Header=BB5_3 Depth=1
	s_or_b64 exec, exec, s[16:17]
.LBB5_8:                                ;   in Loop: Header=BB5_3 Depth=1
	s_or_b64 exec, exec, s[14:15]
	s_mov_b32 s14, 0
.LBB5_9:                                ;   in Loop: Header=BB5_3 Depth=1
	s_or_saveexec_b64 s[4:5], s[4:5]
	v_mov_b32_e32 v14, s14
	v_pk_mov_b32 v[8:9], v[6:7], v[6:7] op_sel:[0,1]
	s_xor_b64 exec, exec, s[4:5]
	s_cbranch_execz .LBB5_11
; %bb.10:                               ;   in Loop: Header=BB5_3 Depth=1
	s_waitcnt vmcnt(0)
	flat_load_dwordx2 v[2:3], v[6:7]
	v_add_u32_e32 v14, -8, v34
	s_waitcnt vmcnt(0) lgkmcnt(0)
	v_and_b32_e32 v8, 0xff, v3
	v_and_b32_e32 v9, 0xff00, v3
	;; [unrolled: 1-line block ×4, first 2 shown]
	v_or_b32_e32 v8, v8, v9
	v_or3_b32 v3, v8, v12, v3
	v_add_co_u32_e32 v8, vcc, 8, v6
	v_or3_b32 v2, v2, 0, 0
	v_addc_co_u32_e32 v9, vcc, 0, v7, vcc
.LBB5_11:                               ;   in Loop: Header=BB5_3 Depth=1
	s_or_b64 exec, exec, s[4:5]
	v_cmp_gt_u32_e32 vcc, 8, v14
                                        ; implicit-def: $vgpr12_vgpr13
                                        ; implicit-def: $sgpr14
	s_and_saveexec_b64 s[4:5], vcc
	s_xor_b64 s[4:5], exec, s[4:5]
	s_cbranch_execz .LBB5_17
; %bb.12:                               ;   in Loop: Header=BB5_3 Depth=1
	v_cmp_ne_u32_e32 vcc, 0, v14
	v_pk_mov_b32 v[12:13], 0, 0
	s_and_saveexec_b64 s[14:15], vcc
	s_cbranch_execz .LBB5_16
; %bb.13:                               ;   in Loop: Header=BB5_3 Depth=1
	s_mov_b64 s[16:17], 0
	v_pk_mov_b32 v[12:13], 0, 0
	s_mov_b64 s[18:19], 0
	s_mov_b64 s[20:21], 0
.LBB5_14:                               ;   Parent Loop BB5_3 Depth=1
                                        ; =>  This Inner Loop Header: Depth=2
	v_mov_b32_e32 v15, s21
	v_add_co_u32_e32 v16, vcc, s20, v8
	v_addc_co_u32_e32 v17, vcc, v9, v15, vcc
	flat_load_ubyte v15, v[16:17]
	s_add_u32 s20, s20, 1
	v_mov_b32_e32 v17, s22
	s_addc_u32 s21, s21, 0
	v_cmp_eq_u32_e32 vcc, s20, v14
	s_waitcnt vmcnt(0) lgkmcnt(0)
	v_and_b32_e32 v16, 0xffff, v15
	v_lshlrev_b64 v[16:17], s18, v[16:17]
	s_add_u32 s18, s18, 8
	s_addc_u32 s19, s19, 0
	v_or_b32_e32 v13, v17, v13
	s_or_b64 s[16:17], vcc, s[16:17]
	v_or_b32_e32 v12, v16, v12
	s_andn2_b64 exec, exec, s[16:17]
	s_cbranch_execnz .LBB5_14
; %bb.15:                               ;   in Loop: Header=BB5_3 Depth=1
	s_or_b64 exec, exec, s[16:17]
.LBB5_16:                               ;   in Loop: Header=BB5_3 Depth=1
	s_or_b64 exec, exec, s[14:15]
	s_mov_b32 s14, 0
                                        ; implicit-def: $vgpr14
.LBB5_17:                               ;   in Loop: Header=BB5_3 Depth=1
	s_or_saveexec_b64 s[4:5], s[4:5]
	v_mov_b32_e32 v16, s14
	s_xor_b64 exec, exec, s[4:5]
	s_cbranch_execz .LBB5_19
; %bb.18:                               ;   in Loop: Header=BB5_3 Depth=1
	flat_load_dwordx2 v[12:13], v[8:9]
	v_add_u32_e32 v16, -8, v14
	v_add_co_u32_e32 v8, vcc, 8, v8
	v_addc_co_u32_e32 v9, vcc, 0, v9, vcc
	s_waitcnt vmcnt(0) lgkmcnt(0)
	v_and_b32_e32 v14, 0xff, v13
	v_and_b32_e32 v15, 0xff00, v13
	v_and_b32_e32 v17, 0xff0000, v13
	v_and_b32_e32 v13, 0xff000000, v13
	v_or_b32_e32 v14, v14, v15
	v_or3_b32 v12, v12, 0, 0
	v_or3_b32 v13, v14, v17, v13
.LBB5_19:                               ;   in Loop: Header=BB5_3 Depth=1
	s_or_b64 exec, exec, s[4:5]
	v_cmp_gt_u32_e32 vcc, 8, v16
                                        ; implicit-def: $sgpr14
	s_and_saveexec_b64 s[4:5], vcc
	s_xor_b64 s[4:5], exec, s[4:5]
	s_cbranch_execz .LBB5_25
; %bb.20:                               ;   in Loop: Header=BB5_3 Depth=1
	v_cmp_ne_u32_e32 vcc, 0, v16
	v_pk_mov_b32 v[14:15], 0, 0
	s_and_saveexec_b64 s[14:15], vcc
	s_cbranch_execz .LBB5_24
; %bb.21:                               ;   in Loop: Header=BB5_3 Depth=1
	s_mov_b64 s[16:17], 0
	v_pk_mov_b32 v[14:15], 0, 0
	s_mov_b64 s[18:19], 0
	s_mov_b64 s[20:21], 0
.LBB5_22:                               ;   Parent Loop BB5_3 Depth=1
                                        ; =>  This Inner Loop Header: Depth=2
	v_mov_b32_e32 v17, s21
	v_add_co_u32_e32 v18, vcc, s20, v8
	v_addc_co_u32_e32 v19, vcc, v9, v17, vcc
	flat_load_ubyte v17, v[18:19]
	s_add_u32 s20, s20, 1
	v_mov_b32_e32 v19, s22
	s_addc_u32 s21, s21, 0
	v_cmp_eq_u32_e32 vcc, s20, v16
	s_waitcnt vmcnt(0) lgkmcnt(0)
	v_and_b32_e32 v18, 0xffff, v17
	v_lshlrev_b64 v[18:19], s18, v[18:19]
	s_add_u32 s18, s18, 8
	s_addc_u32 s19, s19, 0
	v_or_b32_e32 v15, v19, v15
	s_or_b64 s[16:17], vcc, s[16:17]
	v_or_b32_e32 v14, v18, v14
	s_andn2_b64 exec, exec, s[16:17]
	s_cbranch_execnz .LBB5_22
; %bb.23:                               ;   in Loop: Header=BB5_3 Depth=1
	s_or_b64 exec, exec, s[16:17]
.LBB5_24:                               ;   in Loop: Header=BB5_3 Depth=1
	s_or_b64 exec, exec, s[14:15]
	s_mov_b32 s14, 0
                                        ; implicit-def: $vgpr16
.LBB5_25:                               ;   in Loop: Header=BB5_3 Depth=1
	s_or_saveexec_b64 s[4:5], s[4:5]
	v_mov_b32_e32 v18, s14
	s_xor_b64 exec, exec, s[4:5]
	s_cbranch_execz .LBB5_27
; %bb.26:                               ;   in Loop: Header=BB5_3 Depth=1
	flat_load_dwordx2 v[14:15], v[8:9]
	v_add_u32_e32 v18, -8, v16
	v_add_co_u32_e32 v8, vcc, 8, v8
	v_addc_co_u32_e32 v9, vcc, 0, v9, vcc
	s_waitcnt vmcnt(0) lgkmcnt(0)
	v_and_b32_e32 v16, 0xff, v15
	v_and_b32_e32 v17, 0xff00, v15
	;; [unrolled: 1-line block ×4, first 2 shown]
	v_or_b32_e32 v16, v16, v17
	v_or3_b32 v14, v14, 0, 0
	v_or3_b32 v15, v16, v19, v15
.LBB5_27:                               ;   in Loop: Header=BB5_3 Depth=1
	s_or_b64 exec, exec, s[4:5]
	v_cmp_gt_u32_e32 vcc, 8, v18
                                        ; implicit-def: $vgpr16_vgpr17
                                        ; implicit-def: $sgpr14
	s_and_saveexec_b64 s[4:5], vcc
	s_xor_b64 s[4:5], exec, s[4:5]
	s_cbranch_execz .LBB5_33
; %bb.28:                               ;   in Loop: Header=BB5_3 Depth=1
	v_cmp_ne_u32_e32 vcc, 0, v18
	v_pk_mov_b32 v[16:17], 0, 0
	s_and_saveexec_b64 s[14:15], vcc
	s_cbranch_execz .LBB5_32
; %bb.29:                               ;   in Loop: Header=BB5_3 Depth=1
	s_mov_b64 s[16:17], 0
	v_pk_mov_b32 v[16:17], 0, 0
	s_mov_b64 s[18:19], 0
	s_mov_b64 s[20:21], 0
.LBB5_30:                               ;   Parent Loop BB5_3 Depth=1
                                        ; =>  This Inner Loop Header: Depth=2
	v_mov_b32_e32 v19, s21
	v_add_co_u32_e32 v20, vcc, s20, v8
	v_addc_co_u32_e32 v21, vcc, v9, v19, vcc
	flat_load_ubyte v19, v[20:21]
	s_add_u32 s20, s20, 1
	v_mov_b32_e32 v21, s22
	s_addc_u32 s21, s21, 0
	v_cmp_eq_u32_e32 vcc, s20, v18
	s_waitcnt vmcnt(0) lgkmcnt(0)
	v_and_b32_e32 v20, 0xffff, v19
	v_lshlrev_b64 v[20:21], s18, v[20:21]
	s_add_u32 s18, s18, 8
	s_addc_u32 s19, s19, 0
	v_or_b32_e32 v17, v21, v17
	s_or_b64 s[16:17], vcc, s[16:17]
	v_or_b32_e32 v16, v20, v16
	s_andn2_b64 exec, exec, s[16:17]
	s_cbranch_execnz .LBB5_30
; %bb.31:                               ;   in Loop: Header=BB5_3 Depth=1
	s_or_b64 exec, exec, s[16:17]
.LBB5_32:                               ;   in Loop: Header=BB5_3 Depth=1
	s_or_b64 exec, exec, s[14:15]
	s_mov_b32 s14, 0
                                        ; implicit-def: $vgpr18
.LBB5_33:                               ;   in Loop: Header=BB5_3 Depth=1
	s_or_saveexec_b64 s[4:5], s[4:5]
	v_mov_b32_e32 v20, s14
	s_xor_b64 exec, exec, s[4:5]
	s_cbranch_execz .LBB5_35
; %bb.34:                               ;   in Loop: Header=BB5_3 Depth=1
	flat_load_dwordx2 v[16:17], v[8:9]
	v_add_u32_e32 v20, -8, v18
	v_add_co_u32_e32 v8, vcc, 8, v8
	v_addc_co_u32_e32 v9, vcc, 0, v9, vcc
	s_waitcnt vmcnt(0) lgkmcnt(0)
	v_and_b32_e32 v18, 0xff, v17
	v_and_b32_e32 v19, 0xff00, v17
	;; [unrolled: 1-line block ×4, first 2 shown]
	v_or_b32_e32 v18, v18, v19
	v_or3_b32 v16, v16, 0, 0
	v_or3_b32 v17, v18, v21, v17
.LBB5_35:                               ;   in Loop: Header=BB5_3 Depth=1
	s_or_b64 exec, exec, s[4:5]
	v_cmp_gt_u32_e32 vcc, 8, v20
                                        ; implicit-def: $sgpr14
	s_and_saveexec_b64 s[4:5], vcc
	s_xor_b64 s[4:5], exec, s[4:5]
	s_cbranch_execz .LBB5_41
; %bb.36:                               ;   in Loop: Header=BB5_3 Depth=1
	v_cmp_ne_u32_e32 vcc, 0, v20
	v_pk_mov_b32 v[18:19], 0, 0
	s_and_saveexec_b64 s[14:15], vcc
	s_cbranch_execz .LBB5_40
; %bb.37:                               ;   in Loop: Header=BB5_3 Depth=1
	s_mov_b64 s[16:17], 0
	v_pk_mov_b32 v[18:19], 0, 0
	s_mov_b64 s[18:19], 0
	s_mov_b64 s[20:21], 0
.LBB5_38:                               ;   Parent Loop BB5_3 Depth=1
                                        ; =>  This Inner Loop Header: Depth=2
	v_mov_b32_e32 v21, s21
	v_add_co_u32_e32 v22, vcc, s20, v8
	v_addc_co_u32_e32 v23, vcc, v9, v21, vcc
	flat_load_ubyte v21, v[22:23]
	s_add_u32 s20, s20, 1
	v_mov_b32_e32 v23, s22
	s_addc_u32 s21, s21, 0
	v_cmp_eq_u32_e32 vcc, s20, v20
	s_waitcnt vmcnt(0) lgkmcnt(0)
	v_and_b32_e32 v22, 0xffff, v21
	v_lshlrev_b64 v[22:23], s18, v[22:23]
	s_add_u32 s18, s18, 8
	s_addc_u32 s19, s19, 0
	v_or_b32_e32 v19, v23, v19
	s_or_b64 s[16:17], vcc, s[16:17]
	v_or_b32_e32 v18, v22, v18
	s_andn2_b64 exec, exec, s[16:17]
	s_cbranch_execnz .LBB5_38
; %bb.39:                               ;   in Loop: Header=BB5_3 Depth=1
	s_or_b64 exec, exec, s[16:17]
.LBB5_40:                               ;   in Loop: Header=BB5_3 Depth=1
	s_or_b64 exec, exec, s[14:15]
	s_mov_b32 s14, 0
                                        ; implicit-def: $vgpr20
.LBB5_41:                               ;   in Loop: Header=BB5_3 Depth=1
	s_or_saveexec_b64 s[4:5], s[4:5]
	v_mov_b32_e32 v22, s14
	s_xor_b64 exec, exec, s[4:5]
	s_cbranch_execz .LBB5_43
; %bb.42:                               ;   in Loop: Header=BB5_3 Depth=1
	flat_load_dwordx2 v[18:19], v[8:9]
	v_add_u32_e32 v22, -8, v20
	v_add_co_u32_e32 v8, vcc, 8, v8
	v_addc_co_u32_e32 v9, vcc, 0, v9, vcc
	s_waitcnt vmcnt(0) lgkmcnt(0)
	v_and_b32_e32 v20, 0xff, v19
	v_and_b32_e32 v21, 0xff00, v19
	;; [unrolled: 1-line block ×4, first 2 shown]
	v_or_b32_e32 v20, v20, v21
	v_or3_b32 v18, v18, 0, 0
	v_or3_b32 v19, v20, v23, v19
.LBB5_43:                               ;   in Loop: Header=BB5_3 Depth=1
	s_or_b64 exec, exec, s[4:5]
	v_cmp_gt_u32_e32 vcc, 8, v22
                                        ; implicit-def: $vgpr20_vgpr21
                                        ; implicit-def: $sgpr14
	s_and_saveexec_b64 s[4:5], vcc
	s_xor_b64 s[4:5], exec, s[4:5]
	s_cbranch_execz .LBB5_49
; %bb.44:                               ;   in Loop: Header=BB5_3 Depth=1
	v_cmp_ne_u32_e32 vcc, 0, v22
	v_pk_mov_b32 v[20:21], 0, 0
	s_and_saveexec_b64 s[14:15], vcc
	s_cbranch_execz .LBB5_48
; %bb.45:                               ;   in Loop: Header=BB5_3 Depth=1
	s_mov_b64 s[16:17], 0
	v_pk_mov_b32 v[20:21], 0, 0
	s_mov_b64 s[18:19], 0
	s_mov_b64 s[20:21], 0
.LBB5_46:                               ;   Parent Loop BB5_3 Depth=1
                                        ; =>  This Inner Loop Header: Depth=2
	v_mov_b32_e32 v23, s21
	v_add_co_u32_e32 v24, vcc, s20, v8
	v_addc_co_u32_e32 v25, vcc, v9, v23, vcc
	flat_load_ubyte v23, v[24:25]
	s_add_u32 s20, s20, 1
	v_mov_b32_e32 v25, s22
	s_addc_u32 s21, s21, 0
	v_cmp_eq_u32_e32 vcc, s20, v22
	s_waitcnt vmcnt(0) lgkmcnt(0)
	v_and_b32_e32 v24, 0xffff, v23
	v_lshlrev_b64 v[24:25], s18, v[24:25]
	s_add_u32 s18, s18, 8
	s_addc_u32 s19, s19, 0
	v_or_b32_e32 v21, v25, v21
	s_or_b64 s[16:17], vcc, s[16:17]
	v_or_b32_e32 v20, v24, v20
	s_andn2_b64 exec, exec, s[16:17]
	s_cbranch_execnz .LBB5_46
; %bb.47:                               ;   in Loop: Header=BB5_3 Depth=1
	s_or_b64 exec, exec, s[16:17]
.LBB5_48:                               ;   in Loop: Header=BB5_3 Depth=1
	s_or_b64 exec, exec, s[14:15]
	s_mov_b32 s14, 0
                                        ; implicit-def: $vgpr22
.LBB5_49:                               ;   in Loop: Header=BB5_3 Depth=1
	s_or_saveexec_b64 s[4:5], s[4:5]
	v_mov_b32_e32 v24, s14
	s_xor_b64 exec, exec, s[4:5]
	s_cbranch_execz .LBB5_51
; %bb.50:                               ;   in Loop: Header=BB5_3 Depth=1
	flat_load_dwordx2 v[20:21], v[8:9]
	v_add_u32_e32 v24, -8, v22
	v_add_co_u32_e32 v8, vcc, 8, v8
	v_addc_co_u32_e32 v9, vcc, 0, v9, vcc
	s_waitcnt vmcnt(0) lgkmcnt(0)
	v_and_b32_e32 v22, 0xff, v21
	v_and_b32_e32 v23, 0xff00, v21
	;; [unrolled: 1-line block ×4, first 2 shown]
	v_or_b32_e32 v22, v22, v23
	v_or3_b32 v20, v20, 0, 0
	v_or3_b32 v21, v22, v25, v21
.LBB5_51:                               ;   in Loop: Header=BB5_3 Depth=1
	s_or_b64 exec, exec, s[4:5]
	v_cmp_gt_u32_e32 vcc, 8, v24
	s_and_saveexec_b64 s[4:5], vcc
	s_xor_b64 s[4:5], exec, s[4:5]
	s_cbranch_execz .LBB5_57
; %bb.52:                               ;   in Loop: Header=BB5_3 Depth=1
	v_cmp_ne_u32_e32 vcc, 0, v24
	v_pk_mov_b32 v[22:23], 0, 0
	s_and_saveexec_b64 s[14:15], vcc
	s_cbranch_execz .LBB5_56
; %bb.53:                               ;   in Loop: Header=BB5_3 Depth=1
	s_mov_b64 s[16:17], 0
	v_pk_mov_b32 v[22:23], 0, 0
	s_mov_b64 s[18:19], 0
.LBB5_54:                               ;   Parent Loop BB5_3 Depth=1
                                        ; =>  This Inner Loop Header: Depth=2
	flat_load_ubyte v25, v[8:9]
	v_mov_b32_e32 v27, s22
	v_add_co_u32_e32 v8, vcc, 1, v8
	v_add_u32_e32 v24, -1, v24
	v_addc_co_u32_e32 v9, vcc, 0, v9, vcc
	v_cmp_eq_u32_e32 vcc, 0, v24
	s_waitcnt vmcnt(0) lgkmcnt(0)
	v_and_b32_e32 v26, 0xffff, v25
	v_lshlrev_b64 v[26:27], s18, v[26:27]
	s_add_u32 s18, s18, 8
	s_addc_u32 s19, s19, 0
	v_or_b32_e32 v23, v27, v23
	s_or_b64 s[16:17], vcc, s[16:17]
	v_or_b32_e32 v22, v26, v22
	s_andn2_b64 exec, exec, s[16:17]
	s_cbranch_execnz .LBB5_54
; %bb.55:                               ;   in Loop: Header=BB5_3 Depth=1
	s_or_b64 exec, exec, s[16:17]
.LBB5_56:                               ;   in Loop: Header=BB5_3 Depth=1
	s_or_b64 exec, exec, s[14:15]
                                        ; implicit-def: $vgpr8_vgpr9
.LBB5_57:                               ;   in Loop: Header=BB5_3 Depth=1
	s_andn2_saveexec_b64 s[4:5], s[4:5]
	s_cbranch_execz .LBB5_59
; %bb.58:                               ;   in Loop: Header=BB5_3 Depth=1
	flat_load_dwordx2 v[8:9], v[8:9]
	s_waitcnt vmcnt(0) lgkmcnt(0)
	v_and_b32_e32 v22, 0xff, v9
	v_and_b32_e32 v23, 0xff00, v9
	;; [unrolled: 1-line block ×4, first 2 shown]
	v_or_b32_e32 v22, v22, v23
	v_or3_b32 v23, v22, v24, v9
	v_or3_b32 v22, v8, 0, 0
.LBB5_59:                               ;   in Loop: Header=BB5_3 Depth=1
	s_or_b64 exec, exec, s[4:5]
	v_readfirstlane_b32 s4, v32
	v_cmp_eq_u32_e64 s[4:5], s4, v32
	v_pk_mov_b32 v[8:9], 0, 0
	s_and_saveexec_b64 s[14:15], s[4:5]
	s_cbranch_execz .LBB5_65
; %bb.60:                               ;   in Loop: Header=BB5_3 Depth=1
	s_waitcnt lgkmcnt(0)
	global_load_dwordx2 v[26:27], v31, s[12:13] offset:24 glc
	s_waitcnt vmcnt(0)
	buffer_invl2
	buffer_wbinvl1_vol
	global_load_dwordx2 v[8:9], v31, s[12:13] offset:40
	global_load_dwordx2 v[24:25], v31, s[12:13]
	s_waitcnt vmcnt(1)
	v_and_b32_e32 v8, v8, v26
	v_and_b32_e32 v9, v9, v27
	v_mul_lo_u32 v9, v9, 24
	v_mul_hi_u32 v29, v8, 24
	v_mul_lo_u32 v8, v8, 24
	v_add_u32_e32 v9, v29, v9
	s_waitcnt vmcnt(0)
	v_add_co_u32_e32 v8, vcc, v24, v8
	v_addc_co_u32_e32 v9, vcc, v25, v9, vcc
	global_load_dwordx2 v[24:25], v[8:9], off glc
	s_waitcnt vmcnt(0)
	global_atomic_cmpswap_x2 v[8:9], v31, v[24:27], s[12:13] offset:24 glc
	s_waitcnt vmcnt(0)
	buffer_invl2
	buffer_wbinvl1_vol
	v_cmp_ne_u64_e32 vcc, v[8:9], v[26:27]
	s_and_saveexec_b64 s[16:17], vcc
	s_cbranch_execz .LBB5_64
; %bb.61:                               ;   in Loop: Header=BB5_3 Depth=1
	s_mov_b64 s[18:19], 0
.LBB5_62:                               ;   Parent Loop BB5_3 Depth=1
                                        ; =>  This Inner Loop Header: Depth=2
	s_sleep 1
	global_load_dwordx2 v[24:25], v31, s[12:13] offset:40
	global_load_dwordx2 v[36:37], v31, s[12:13]
	v_pk_mov_b32 v[26:27], v[8:9], v[8:9] op_sel:[0,1]
	s_waitcnt vmcnt(1)
	v_and_b32_e32 v8, v24, v26
	s_waitcnt vmcnt(0)
	v_mad_u64_u32 v[8:9], s[20:21], v8, 24, v[36:37]
	v_and_b32_e32 v25, v25, v27
	v_mov_b32_e32 v24, v9
	v_mad_u64_u32 v[24:25], s[20:21], v25, 24, v[24:25]
	v_mov_b32_e32 v9, v24
	global_load_dwordx2 v[24:25], v[8:9], off glc
	s_waitcnt vmcnt(0)
	global_atomic_cmpswap_x2 v[8:9], v31, v[24:27], s[12:13] offset:24 glc
	s_waitcnt vmcnt(0)
	buffer_invl2
	buffer_wbinvl1_vol
	v_cmp_eq_u64_e32 vcc, v[8:9], v[26:27]
	s_or_b64 s[18:19], vcc, s[18:19]
	s_andn2_b64 exec, exec, s[18:19]
	s_cbranch_execnz .LBB5_62
; %bb.63:                               ;   in Loop: Header=BB5_3 Depth=1
	s_or_b64 exec, exec, s[18:19]
.LBB5_64:                               ;   in Loop: Header=BB5_3 Depth=1
	s_or_b64 exec, exec, s[16:17]
.LBB5_65:                               ;   in Loop: Header=BB5_3 Depth=1
	s_or_b64 exec, exec, s[14:15]
	s_waitcnt lgkmcnt(0)
	global_load_dwordx2 v[36:37], v31, s[12:13] offset:40
	global_load_dwordx4 v[24:27], v31, s[12:13]
	v_readfirstlane_b32 s14, v8
	v_readfirstlane_b32 s15, v9
	s_mov_b64 s[16:17], exec
	s_waitcnt vmcnt(1)
	v_readfirstlane_b32 s18, v36
	v_readfirstlane_b32 s19, v37
	s_and_b64 s[18:19], s[14:15], s[18:19]
	s_mul_i32 s20, s19, 24
	s_mul_hi_u32 s21, s18, 24
	s_mul_i32 s24, s18, 24
	s_add_i32 s20, s21, s20
	v_mov_b32_e32 v8, s20
	s_waitcnt vmcnt(0)
	v_add_co_u32_e32 v36, vcc, s24, v24
	v_addc_co_u32_e32 v37, vcc, v25, v8, vcc
	s_and_saveexec_b64 s[20:21], s[4:5]
	s_cbranch_execz .LBB5_67
; %bb.66:                               ;   in Loop: Header=BB5_3 Depth=1
	v_pk_mov_b32 v[8:9], s[16:17], s[16:17] op_sel:[0,1]
	global_store_dwordx4 v[36:37], v[8:11], off offset:8
.LBB5_67:                               ;   in Loop: Header=BB5_3 Depth=1
	s_or_b64 exec, exec, s[20:21]
	s_lshl_b64 s[16:17], s[18:19], 12
	v_mov_b32_e32 v9, s17
	v_add_co_u32_e32 v8, vcc, s16, v26
	v_addc_co_u32_e32 v9, vcc, v27, v9, vcc
	v_or_b32_e32 v26, 0, v1
	v_cmp_lt_u64_e32 vcc, 56, v[4:5]
	v_or_b32_e32 v27, v0, v28
	v_cndmask_b32_e32 v1, v26, v1, vcc
	v_lshl_add_u32 v26, v34, 2, 28
	v_cndmask_b32_e32 v0, v27, v0, vcc
	v_and_b32_e32 v26, 0x1e0, v26
	v_and_or_b32 v0, v0, s23, v26
	v_lshlrev_b32_e32 v26, 6, v32
	v_readfirstlane_b32 s16, v8
	v_readfirstlane_b32 s17, v9
	s_nop 4
	global_store_dwordx4 v26, v[0:3], s[16:17]
	global_store_dwordx4 v26, v[12:15], s[16:17] offset:16
	global_store_dwordx4 v26, v[16:19], s[16:17] offset:32
	;; [unrolled: 1-line block ×3, first 2 shown]
	s_and_saveexec_b64 s[16:17], s[4:5]
	s_cbranch_execz .LBB5_75
; %bb.68:                               ;   in Loop: Header=BB5_3 Depth=1
	global_load_dwordx2 v[16:17], v31, s[12:13] offset:32 glc
	global_load_dwordx2 v[0:1], v31, s[12:13] offset:40
	v_mov_b32_e32 v14, s14
	v_mov_b32_e32 v15, s15
	s_waitcnt vmcnt(0)
	v_readfirstlane_b32 s18, v0
	v_readfirstlane_b32 s19, v1
	s_and_b64 s[18:19], s[18:19], s[14:15]
	s_mul_i32 s19, s19, 24
	s_mul_hi_u32 s20, s18, 24
	s_mul_i32 s18, s18, 24
	s_add_i32 s19, s20, s19
	v_mov_b32_e32 v0, s19
	v_add_co_u32_e32 v12, vcc, s18, v24
	v_addc_co_u32_e32 v13, vcc, v25, v0, vcc
	global_store_dwordx2 v[12:13], v[16:17], off
	buffer_wbl2
	s_waitcnt vmcnt(0)
	global_atomic_cmpswap_x2 v[2:3], v31, v[14:17], s[12:13] offset:32 glc
	s_waitcnt vmcnt(0)
	v_cmp_ne_u64_e32 vcc, v[2:3], v[16:17]
	s_and_saveexec_b64 s[18:19], vcc
	s_cbranch_execz .LBB5_71
; %bb.69:                               ;   in Loop: Header=BB5_3 Depth=1
	s_mov_b64 s[20:21], 0
.LBB5_70:                               ;   Parent Loop BB5_3 Depth=1
                                        ; =>  This Inner Loop Header: Depth=2
	s_sleep 1
	global_store_dwordx2 v[12:13], v[2:3], off
	v_mov_b32_e32 v0, s14
	v_mov_b32_e32 v1, s15
	buffer_wbl2
	s_waitcnt vmcnt(0)
	global_atomic_cmpswap_x2 v[0:1], v31, v[0:3], s[12:13] offset:32 glc
	s_waitcnt vmcnt(0)
	v_cmp_eq_u64_e32 vcc, v[0:1], v[2:3]
	s_or_b64 s[20:21], vcc, s[20:21]
	v_pk_mov_b32 v[2:3], v[0:1], v[0:1] op_sel:[0,1]
	s_andn2_b64 exec, exec, s[20:21]
	s_cbranch_execnz .LBB5_70
.LBB5_71:                               ;   in Loop: Header=BB5_3 Depth=1
	s_or_b64 exec, exec, s[18:19]
	global_load_dwordx2 v[0:1], v31, s[12:13] offset:16
	s_mov_b64 s[20:21], exec
	v_mbcnt_lo_u32_b32 v2, s20, 0
	v_mbcnt_hi_u32_b32 v2, s21, v2
	v_cmp_eq_u32_e32 vcc, 0, v2
	s_and_saveexec_b64 s[18:19], vcc
	s_cbranch_execz .LBB5_73
; %bb.72:                               ;   in Loop: Header=BB5_3 Depth=1
	s_bcnt1_i32_b64 s20, s[20:21]
	v_mov_b32_e32 v30, s20
	buffer_wbl2
	s_waitcnt vmcnt(0)
	global_atomic_add_x2 v[0:1], v[30:31], off offset:8
.LBB5_73:                               ;   in Loop: Header=BB5_3 Depth=1
	s_or_b64 exec, exec, s[18:19]
	s_waitcnt vmcnt(0)
	global_load_dwordx2 v[2:3], v[0:1], off offset:16
	s_waitcnt vmcnt(0)
	v_cmp_eq_u64_e32 vcc, 0, v[2:3]
	s_cbranch_vccnz .LBB5_75
; %bb.74:                               ;   in Loop: Header=BB5_3 Depth=1
	global_load_dword v30, v[0:1], off offset:24
	s_waitcnt vmcnt(0)
	v_and_b32_e32 v0, 0xffffff, v30
	v_readfirstlane_b32 m0, v0
	buffer_wbl2
	global_store_dwordx2 v[2:3], v[30:31], off
	s_sendmsg sendmsg(MSG_INTERRUPT)
.LBB5_75:                               ;   in Loop: Header=BB5_3 Depth=1
	s_or_b64 exec, exec, s[16:17]
	v_add_co_u32_e32 v0, vcc, v8, v26
	v_addc_co_u32_e32 v1, vcc, 0, v9, vcc
	s_branch .LBB5_79
.LBB5_76:                               ;   in Loop: Header=BB5_79 Depth=2
	s_or_b64 exec, exec, s[16:17]
	v_readfirstlane_b32 s16, v2
	s_cmp_eq_u32 s16, 0
	s_cbranch_scc1 .LBB5_78
; %bb.77:                               ;   in Loop: Header=BB5_79 Depth=2
	s_sleep 1
	s_cbranch_execnz .LBB5_79
	s_branch .LBB5_81
.LBB5_78:                               ;   in Loop: Header=BB5_3 Depth=1
	s_branch .LBB5_81
.LBB5_79:                               ;   Parent Loop BB5_3 Depth=1
                                        ; =>  This Inner Loop Header: Depth=2
	v_mov_b32_e32 v2, 1
	s_and_saveexec_b64 s[16:17], s[4:5]
	s_cbranch_execz .LBB5_76
; %bb.80:                               ;   in Loop: Header=BB5_79 Depth=2
	global_load_dword v2, v[36:37], off offset:20 glc
	s_waitcnt vmcnt(0)
	buffer_invl2
	buffer_wbinvl1_vol
	v_and_b32_e32 v2, 1, v2
	s_branch .LBB5_76
.LBB5_81:                               ;   in Loop: Header=BB5_3 Depth=1
	global_load_dwordx4 v[0:3], v[0:1], off
	s_and_saveexec_b64 s[16:17], s[4:5]
	s_cbranch_execz .LBB5_2
; %bb.82:                               ;   in Loop: Header=BB5_3 Depth=1
	global_load_dwordx2 v[2:3], v31, s[12:13] offset:40
	global_load_dwordx2 v[8:9], v31, s[12:13] offset:24 glc
	global_load_dwordx2 v[16:17], v31, s[12:13]
	v_mov_b32_e32 v13, s15
	s_waitcnt vmcnt(2)
	v_add_co_u32_e32 v15, vcc, 1, v2
	v_addc_co_u32_e32 v18, vcc, 0, v3, vcc
	v_add_co_u32_e32 v12, vcc, s14, v15
	v_addc_co_u32_e32 v13, vcc, v18, v13, vcc
	v_cmp_eq_u64_e32 vcc, 0, v[12:13]
	v_cndmask_b32_e32 v13, v13, v18, vcc
	v_cndmask_b32_e32 v12, v12, v15, vcc
	v_and_b32_e32 v3, v13, v3
	v_and_b32_e32 v2, v12, v2
	v_mul_lo_u32 v3, v3, 24
	v_mul_hi_u32 v15, v2, 24
	v_mul_lo_u32 v2, v2, 24
	v_add_u32_e32 v3, v15, v3
	s_waitcnt vmcnt(0)
	v_add_co_u32_e32 v2, vcc, v16, v2
	v_addc_co_u32_e32 v3, vcc, v17, v3, vcc
	v_mov_b32_e32 v14, v8
	global_store_dwordx2 v[2:3], v[8:9], off
	v_mov_b32_e32 v15, v9
	buffer_wbl2
	s_waitcnt vmcnt(0)
	global_atomic_cmpswap_x2 v[14:15], v31, v[12:15], s[12:13] offset:24 glc
	s_waitcnt vmcnt(0)
	v_cmp_ne_u64_e32 vcc, v[14:15], v[8:9]
	s_and_b64 exec, exec, vcc
	s_cbranch_execz .LBB5_2
; %bb.83:                               ;   in Loop: Header=BB5_3 Depth=1
	s_mov_b64 s[4:5], 0
.LBB5_84:                               ;   Parent Loop BB5_3 Depth=1
                                        ; =>  This Inner Loop Header: Depth=2
	s_sleep 1
	global_store_dwordx2 v[2:3], v[14:15], off
	buffer_wbl2
	s_waitcnt vmcnt(0)
	global_atomic_cmpswap_x2 v[8:9], v31, v[12:15], s[12:13] offset:24 glc
	s_waitcnt vmcnt(0)
	v_cmp_eq_u64_e32 vcc, v[8:9], v[14:15]
	s_or_b64 s[4:5], vcc, s[4:5]
	v_pk_mov_b32 v[14:15], v[8:9], v[8:9] op_sel:[0,1]
	s_andn2_b64 exec, exec, s[4:5]
	s_cbranch_execnz .LBB5_84
	s_branch .LBB5_2
.LBB5_85:
	s_or_b64 exec, exec, s[6:7]
                                        ; implicit-def: $vgpr3
                                        ; implicit-def: $vgpr2
.LBB5_86:
	s_andn2_saveexec_b64 s[6:7], s[10:11]
	s_cbranch_execz .LBB5_109
; %bb.87:
	s_load_dwordx2 s[8:9], s[8:9], 0x50
	s_waitcnt vmcnt(0)
	v_mbcnt_hi_u32_b32 v10, -1, v2
	v_readfirstlane_b32 s4, v10
	v_cmp_eq_u32_e64 s[4:5], s4, v10
	v_pk_mov_b32 v[8:9], 0, 0
	s_and_saveexec_b64 s[10:11], s[4:5]
	s_cbranch_execz .LBB5_93
; %bb.88:
	v_mov_b32_e32 v0, 0
	s_waitcnt lgkmcnt(0)
	global_load_dwordx2 v[6:7], v0, s[8:9] offset:24 glc
	s_waitcnt vmcnt(0)
	buffer_invl2
	buffer_wbinvl1_vol
	global_load_dwordx2 v[4:5], v0, s[8:9] offset:40
	global_load_dwordx2 v[8:9], v0, s[8:9]
	s_waitcnt vmcnt(1)
	v_and_b32_e32 v2, v4, v6
	v_and_b32_e32 v4, v5, v7
	v_mul_lo_u32 v4, v4, 24
	v_mul_hi_u32 v5, v2, 24
	v_mul_lo_u32 v2, v2, 24
	v_add_u32_e32 v5, v5, v4
	s_waitcnt vmcnt(0)
	v_add_co_u32_e32 v4, vcc, v8, v2
	v_addc_co_u32_e32 v5, vcc, v9, v5, vcc
	global_load_dwordx2 v[4:5], v[4:5], off glc
	s_waitcnt vmcnt(0)
	global_atomic_cmpswap_x2 v[8:9], v0, v[4:7], s[8:9] offset:24 glc
	s_waitcnt vmcnt(0)
	buffer_invl2
	buffer_wbinvl1_vol
	v_cmp_ne_u64_e32 vcc, v[8:9], v[6:7]
	s_and_saveexec_b64 s[12:13], vcc
	s_cbranch_execz .LBB5_92
; %bb.89:
	s_mov_b64 s[14:15], 0
.LBB5_90:                               ; =>This Inner Loop Header: Depth=1
	s_sleep 1
	global_load_dwordx2 v[4:5], v0, s[8:9] offset:40
	global_load_dwordx2 v[12:13], v0, s[8:9]
	v_pk_mov_b32 v[6:7], v[8:9], v[8:9] op_sel:[0,1]
	s_waitcnt vmcnt(1)
	v_and_b32_e32 v2, v4, v6
	v_and_b32_e32 v8, v5, v7
	s_waitcnt vmcnt(0)
	v_mad_u64_u32 v[4:5], s[16:17], v2, 24, v[12:13]
	v_mov_b32_e32 v2, v5
	v_mad_u64_u32 v[8:9], s[16:17], v8, 24, v[2:3]
	v_mov_b32_e32 v5, v8
	global_load_dwordx2 v[4:5], v[4:5], off glc
	s_waitcnt vmcnt(0)
	global_atomic_cmpswap_x2 v[8:9], v0, v[4:7], s[8:9] offset:24 glc
	s_waitcnt vmcnt(0)
	buffer_invl2
	buffer_wbinvl1_vol
	v_cmp_eq_u64_e32 vcc, v[8:9], v[6:7]
	s_or_b64 s[14:15], vcc, s[14:15]
	s_andn2_b64 exec, exec, s[14:15]
	s_cbranch_execnz .LBB5_90
; %bb.91:
	s_or_b64 exec, exec, s[14:15]
.LBB5_92:
	s_or_b64 exec, exec, s[12:13]
.LBB5_93:
	s_or_b64 exec, exec, s[10:11]
	v_mov_b32_e32 v2, 0
	s_waitcnt lgkmcnt(0)
	global_load_dwordx2 v[12:13], v2, s[8:9] offset:40
	global_load_dwordx4 v[4:7], v2, s[8:9]
	v_readfirstlane_b32 s10, v8
	v_readfirstlane_b32 s11, v9
	s_mov_b64 s[12:13], exec
	s_waitcnt vmcnt(1)
	v_readfirstlane_b32 s14, v12
	v_readfirstlane_b32 s15, v13
	s_and_b64 s[14:15], s[10:11], s[14:15]
	s_mul_i32 s16, s15, 24
	s_mul_hi_u32 s17, s14, 24
	s_mul_i32 s18, s14, 24
	s_add_i32 s16, s17, s16
	v_mov_b32_e32 v0, s16
	s_waitcnt vmcnt(0)
	v_add_co_u32_e32 v8, vcc, s18, v4
	v_addc_co_u32_e32 v9, vcc, v5, v0, vcc
	s_and_saveexec_b64 s[16:17], s[4:5]
	s_cbranch_execz .LBB5_95
; %bb.94:
	v_pk_mov_b32 v[12:13], s[12:13], s[12:13] op_sel:[0,1]
	v_mov_b32_e32 v14, 2
	v_mov_b32_e32 v15, 1
	global_store_dwordx4 v[8:9], v[12:15], off offset:8
.LBB5_95:
	s_or_b64 exec, exec, s[16:17]
	s_lshl_b64 s[12:13], s[14:15], 12
	v_mov_b32_e32 v0, s13
	v_add_co_u32_e32 v12, vcc, s12, v6
	s_movk_i32 s12, 0xff1f
	v_addc_co_u32_e32 v11, vcc, v7, v0, vcc
	v_and_or_b32 v0, v3, s12, 32
	s_mov_b32 s12, 0
	v_lshlrev_b32_e32 v10, 6, v10
	v_mov_b32_e32 v3, v2
	v_readfirstlane_b32 s16, v12
	v_readfirstlane_b32 s17, v11
	s_mov_b32 s13, s12
	v_add_co_u32_e32 v6, vcc, v12, v10
	s_mov_b32 s14, s12
	s_mov_b32 s15, s12
	s_nop 0
	global_store_dwordx4 v10, v[0:3], s[16:17]
	v_addc_co_u32_e32 v7, vcc, 0, v11, vcc
	v_pk_mov_b32 v[0:1], s[12:13], s[12:13] op_sel:[0,1]
	v_pk_mov_b32 v[2:3], s[14:15], s[14:15] op_sel:[0,1]
	global_store_dwordx4 v10, v[0:3], s[16:17] offset:16
	global_store_dwordx4 v10, v[0:3], s[16:17] offset:32
	;; [unrolled: 1-line block ×3, first 2 shown]
	s_and_saveexec_b64 s[12:13], s[4:5]
	s_cbranch_execz .LBB5_103
; %bb.96:
	v_mov_b32_e32 v10, 0
	global_load_dwordx2 v[14:15], v10, s[8:9] offset:32 glc
	global_load_dwordx2 v[0:1], v10, s[8:9] offset:40
	v_mov_b32_e32 v12, s10
	v_mov_b32_e32 v13, s11
	s_waitcnt vmcnt(0)
	v_and_b32_e32 v0, s10, v0
	v_and_b32_e32 v1, s11, v1
	v_mul_lo_u32 v1, v1, 24
	v_mul_hi_u32 v2, v0, 24
	v_mul_lo_u32 v0, v0, 24
	v_add_u32_e32 v1, v2, v1
	v_add_co_u32_e32 v4, vcc, v4, v0
	v_addc_co_u32_e32 v5, vcc, v5, v1, vcc
	global_store_dwordx2 v[4:5], v[14:15], off
	buffer_wbl2
	s_waitcnt vmcnt(0)
	global_atomic_cmpswap_x2 v[2:3], v10, v[12:15], s[8:9] offset:32 glc
	s_waitcnt vmcnt(0)
	v_cmp_ne_u64_e32 vcc, v[2:3], v[14:15]
	s_and_saveexec_b64 s[14:15], vcc
	s_cbranch_execz .LBB5_99
; %bb.97:
	s_mov_b64 s[16:17], 0
.LBB5_98:                               ; =>This Inner Loop Header: Depth=1
	s_sleep 1
	global_store_dwordx2 v[4:5], v[2:3], off
	v_mov_b32_e32 v0, s10
	v_mov_b32_e32 v1, s11
	buffer_wbl2
	s_waitcnt vmcnt(0)
	global_atomic_cmpswap_x2 v[0:1], v10, v[0:3], s[8:9] offset:32 glc
	s_waitcnt vmcnt(0)
	v_cmp_eq_u64_e32 vcc, v[0:1], v[2:3]
	s_or_b64 s[16:17], vcc, s[16:17]
	v_pk_mov_b32 v[2:3], v[0:1], v[0:1] op_sel:[0,1]
	s_andn2_b64 exec, exec, s[16:17]
	s_cbranch_execnz .LBB5_98
.LBB5_99:
	s_or_b64 exec, exec, s[14:15]
	v_mov_b32_e32 v3, 0
	global_load_dwordx2 v[0:1], v3, s[8:9] offset:16
	s_mov_b64 s[14:15], exec
	v_mbcnt_lo_u32_b32 v2, s14, 0
	v_mbcnt_hi_u32_b32 v2, s15, v2
	v_cmp_eq_u32_e32 vcc, 0, v2
	s_and_saveexec_b64 s[16:17], vcc
	s_cbranch_execz .LBB5_101
; %bb.100:
	s_bcnt1_i32_b64 s14, s[14:15]
	v_mov_b32_e32 v2, s14
	buffer_wbl2
	s_waitcnt vmcnt(0)
	global_atomic_add_x2 v[0:1], v[2:3], off offset:8
.LBB5_101:
	s_or_b64 exec, exec, s[16:17]
	s_waitcnt vmcnt(0)
	global_load_dwordx2 v[2:3], v[0:1], off offset:16
	s_waitcnt vmcnt(0)
	v_cmp_eq_u64_e32 vcc, 0, v[2:3]
	s_cbranch_vccnz .LBB5_103
; %bb.102:
	global_load_dword v0, v[0:1], off offset:24
	v_mov_b32_e32 v1, 0
	buffer_wbl2
	s_waitcnt vmcnt(0)
	global_store_dwordx2 v[2:3], v[0:1], off
	v_and_b32_e32 v0, 0xffffff, v0
	v_readfirstlane_b32 m0, v0
	s_sendmsg sendmsg(MSG_INTERRUPT)
.LBB5_103:
	s_or_b64 exec, exec, s[12:13]
	s_branch .LBB5_107
.LBB5_104:                              ;   in Loop: Header=BB5_107 Depth=1
	s_or_b64 exec, exec, s[12:13]
	v_readfirstlane_b32 s12, v0
	s_cmp_eq_u32 s12, 0
	s_cbranch_scc1 .LBB5_106
; %bb.105:                              ;   in Loop: Header=BB5_107 Depth=1
	s_sleep 1
	s_cbranch_execnz .LBB5_107
	s_branch .LBB5_110
.LBB5_106:
	s_branch .LBB5_110
.LBB5_107:                              ; =>This Inner Loop Header: Depth=1
	v_mov_b32_e32 v0, 1
	s_and_saveexec_b64 s[12:13], s[4:5]
	s_cbranch_execz .LBB5_104
; %bb.108:                              ;   in Loop: Header=BB5_107 Depth=1
	global_load_dword v0, v[8:9], off offset:20 glc
	s_waitcnt vmcnt(0)
	buffer_invl2
	buffer_wbinvl1_vol
	v_and_b32_e32 v0, 1, v0
	s_branch .LBB5_104
.LBB5_109:
	s_or_b64 exec, exec, s[6:7]
	s_waitcnt vmcnt(0) lgkmcnt(0)
	s_setpc_b64 s[30:31]
.LBB5_110:
	global_load_dwordx2 v[0:1], v[6:7], off
	s_and_saveexec_b64 s[12:13], s[4:5]
	s_cbranch_execz .LBB5_113
; %bb.111:
	v_mov_b32_e32 v8, 0
	global_load_dwordx2 v[6:7], v8, s[8:9] offset:40
	global_load_dwordx2 v[10:11], v8, s[8:9] offset:24 glc
	global_load_dwordx2 v[12:13], v8, s[8:9]
	v_mov_b32_e32 v3, s11
	s_mov_b64 s[4:5], 0
	s_waitcnt vmcnt(2)
	v_add_co_u32_e32 v5, vcc, 1, v6
	v_addc_co_u32_e32 v9, vcc, 0, v7, vcc
	v_add_co_u32_e32 v2, vcc, s10, v5
	v_addc_co_u32_e32 v3, vcc, v9, v3, vcc
	v_cmp_eq_u64_e32 vcc, 0, v[2:3]
	v_cndmask_b32_e32 v3, v3, v9, vcc
	v_cndmask_b32_e32 v2, v2, v5, vcc
	v_and_b32_e32 v5, v3, v7
	v_and_b32_e32 v6, v2, v6
	v_mul_lo_u32 v5, v5, 24
	v_mul_hi_u32 v7, v6, 24
	v_mul_lo_u32 v6, v6, 24
	v_add_u32_e32 v5, v7, v5
	s_waitcnt vmcnt(0)
	v_add_co_u32_e32 v6, vcc, v12, v6
	v_addc_co_u32_e32 v7, vcc, v13, v5, vcc
	v_mov_b32_e32 v4, v10
	global_store_dwordx2 v[6:7], v[10:11], off
	v_mov_b32_e32 v5, v11
	buffer_wbl2
	s_waitcnt vmcnt(0)
	global_atomic_cmpswap_x2 v[4:5], v8, v[2:5], s[8:9] offset:24 glc
	s_waitcnt vmcnt(0)
	v_cmp_ne_u64_e32 vcc, v[4:5], v[10:11]
	s_and_b64 exec, exec, vcc
	s_cbranch_execz .LBB5_113
.LBB5_112:                              ; =>This Inner Loop Header: Depth=1
	s_sleep 1
	global_store_dwordx2 v[6:7], v[4:5], off
	buffer_wbl2
	s_waitcnt vmcnt(0)
	global_atomic_cmpswap_x2 v[10:11], v8, v[2:5], s[8:9] offset:24 glc
	s_waitcnt vmcnt(0)
	v_cmp_eq_u64_e32 vcc, v[10:11], v[4:5]
	s_or_b64 s[4:5], vcc, s[4:5]
	v_pk_mov_b32 v[4:5], v[10:11], v[10:11] op_sel:[0,1]
	s_andn2_b64 exec, exec, s[4:5]
	s_cbranch_execnz .LBB5_112
.LBB5_113:
	s_or_b64 exec, exec, s[12:13]
	s_or_b64 exec, exec, s[6:7]
	s_waitcnt vmcnt(0) lgkmcnt(0)
	s_setpc_b64 s[30:31]
.Lfunc_end5:
	.size	__ockl_printf_append_string_n, .Lfunc_end5-__ockl_printf_append_string_n
                                        ; -- End function
	.section	.AMDGPU.csdata,"",@progbits
; Function info:
; codeLenInByte = 4376
; NumSgprs: 36
; NumVgprs: 38
; NumAgprs: 0
; TotalNumVgprs: 38
; ScratchSize: 0
; MemoryBound: 0
	.text
	.p2align	2                               ; -- Begin function __ockl_printf_append_args
	.type	__ockl_printf_append_args,@function
__ockl_printf_append_args:              ; @__ockl_printf_append_args
; %bb.0:
	s_waitcnt vmcnt(0) expcnt(0) lgkmcnt(0)
	s_load_dwordx2 s[6:7], s[8:9], 0x50
	v_mbcnt_lo_u32_b32 v5, -1, 0
	v_mbcnt_hi_u32_b32 v5, -1, v5
	v_readfirstlane_b32 s4, v5
	v_cmp_eq_u32_e64 s[4:5], s4, v5
	v_pk_mov_b32 v[10:11], 0, 0
	s_and_saveexec_b64 s[8:9], s[4:5]
	s_cbranch_execz .LBB6_6
; %bb.1:
	v_mov_b32_e32 v6, 0
	s_waitcnt lgkmcnt(0)
	global_load_dwordx2 v[12:13], v6, s[6:7] offset:24 glc
	s_waitcnt vmcnt(0)
	buffer_invl2
	buffer_wbinvl1_vol
	global_load_dwordx2 v[8:9], v6, s[6:7] offset:40
	global_load_dwordx2 v[10:11], v6, s[6:7]
	s_waitcnt vmcnt(1)
	v_and_b32_e32 v7, v8, v12
	v_and_b32_e32 v8, v9, v13
	v_mul_lo_u32 v8, v8, 24
	v_mul_hi_u32 v9, v7, 24
	v_mul_lo_u32 v7, v7, 24
	v_add_u32_e32 v9, v9, v8
	s_waitcnt vmcnt(0)
	v_add_co_u32_e32 v8, vcc, v10, v7
	v_addc_co_u32_e32 v9, vcc, v11, v9, vcc
	global_load_dwordx2 v[10:11], v[8:9], off glc
	s_waitcnt vmcnt(0)
	global_atomic_cmpswap_x2 v[10:11], v6, v[10:13], s[6:7] offset:24 glc
	s_waitcnt vmcnt(0)
	buffer_invl2
	buffer_wbinvl1_vol
	v_cmp_ne_u64_e32 vcc, v[10:11], v[12:13]
	s_and_saveexec_b64 s[10:11], vcc
	s_cbranch_execz .LBB6_5
; %bb.2:
	s_mov_b64 s[12:13], 0
.LBB6_3:                                ; =>This Inner Loop Header: Depth=1
	s_sleep 1
	global_load_dwordx2 v[8:9], v6, s[6:7] offset:40
	global_load_dwordx2 v[14:15], v6, s[6:7]
	v_pk_mov_b32 v[12:13], v[10:11], v[10:11] op_sel:[0,1]
	s_waitcnt vmcnt(1)
	v_and_b32_e32 v8, v8, v12
	v_and_b32_e32 v7, v9, v13
	s_waitcnt vmcnt(0)
	v_mad_u64_u32 v[8:9], s[14:15], v8, 24, v[14:15]
	v_mov_b32_e32 v10, v9
	v_mad_u64_u32 v[10:11], s[14:15], v7, 24, v[10:11]
	v_mov_b32_e32 v9, v10
	global_load_dwordx2 v[10:11], v[8:9], off glc
	s_waitcnt vmcnt(0)
	global_atomic_cmpswap_x2 v[10:11], v6, v[10:13], s[6:7] offset:24 glc
	s_waitcnt vmcnt(0)
	buffer_invl2
	buffer_wbinvl1_vol
	v_cmp_eq_u64_e32 vcc, v[10:11], v[12:13]
	s_or_b64 s[12:13], vcc, s[12:13]
	s_andn2_b64 exec, exec, s[12:13]
	s_cbranch_execnz .LBB6_3
; %bb.4:
	s_or_b64 exec, exec, s[12:13]
.LBB6_5:
	s_or_b64 exec, exec, s[10:11]
.LBB6_6:
	s_or_b64 exec, exec, s[8:9]
	v_mov_b32_e32 v14, 0
	s_waitcnt lgkmcnt(0)
	global_load_dwordx2 v[12:13], v14, s[6:7] offset:40
	global_load_dwordx4 v[6:9], v14, s[6:7]
	v_readfirstlane_b32 s8, v10
	v_readfirstlane_b32 s9, v11
	s_mov_b64 s[10:11], exec
	s_waitcnt vmcnt(1)
	v_readfirstlane_b32 s12, v12
	v_readfirstlane_b32 s13, v13
	s_and_b64 s[12:13], s[8:9], s[12:13]
	s_mul_i32 s14, s13, 24
	s_mul_hi_u32 s15, s12, 24
	s_mul_i32 s16, s12, 24
	s_add_i32 s14, s15, s14
	v_mov_b32_e32 v11, s14
	s_waitcnt vmcnt(0)
	v_add_co_u32_e32 v10, vcc, s16, v6
	v_addc_co_u32_e32 v11, vcc, v7, v11, vcc
	s_and_saveexec_b64 s[14:15], s[4:5]
	s_cbranch_execz .LBB6_8
; %bb.7:
	v_pk_mov_b32 v[12:13], s[10:11], s[10:11] op_sel:[0,1]
	v_mov_b32_e32 v14, 2
	v_mov_b32_e32 v15, 1
	global_store_dwordx4 v[10:11], v[12:15], off offset:8
.LBB6_8:
	s_or_b64 exec, exec, s[14:15]
	s_lshl_b64 s[10:11], s[12:13], 12
	v_mov_b32_e32 v12, s11
	v_add_co_u32_e32 v8, vcc, s10, v8
	v_addc_co_u32_e32 v9, vcc, v9, v12, vcc
	v_or_b32_e32 v12, 2, v0
	v_cmp_eq_u32_e32 vcc, 0, v4
	s_mov_b32 s12, 0
	v_cndmask_b32_e32 v0, v12, v0, vcc
	s_movk_i32 s10, 0xff1f
	v_and_or_b32 v0, v0, s10, 32
	v_lshlrev_b32_e32 v4, 6, v5
	v_readfirstlane_b32 s10, v8
	v_readfirstlane_b32 s11, v9
	s_mov_b32 s13, s12
	s_mov_b32 s14, s12
	;; [unrolled: 1-line block ×3, first 2 shown]
	s_nop 1
	global_store_dwordx4 v4, v[0:3], s[10:11]
	s_nop 0
	v_pk_mov_b32 v[0:1], s[12:13], s[12:13] op_sel:[0,1]
	v_pk_mov_b32 v[2:3], s[14:15], s[14:15] op_sel:[0,1]
	global_store_dwordx4 v4, v[0:3], s[10:11] offset:16
	global_store_dwordx4 v4, v[0:3], s[10:11] offset:32
	;; [unrolled: 1-line block ×3, first 2 shown]
	s_and_saveexec_b64 s[10:11], s[4:5]
	s_cbranch_execz .LBB6_16
; %bb.9:
	v_mov_b32_e32 v8, 0
	global_load_dwordx2 v[14:15], v8, s[6:7] offset:32 glc
	global_load_dwordx2 v[0:1], v8, s[6:7] offset:40
	v_mov_b32_e32 v12, s8
	v_mov_b32_e32 v13, s9
	s_waitcnt vmcnt(0)
	v_and_b32_e32 v0, s8, v0
	v_and_b32_e32 v1, s9, v1
	v_mul_lo_u32 v1, v1, 24
	v_mul_hi_u32 v2, v0, 24
	v_mul_lo_u32 v0, v0, 24
	v_add_u32_e32 v1, v2, v1
	v_add_co_u32_e32 v4, vcc, v6, v0
	v_addc_co_u32_e32 v5, vcc, v7, v1, vcc
	global_store_dwordx2 v[4:5], v[14:15], off
	buffer_wbl2
	s_waitcnt vmcnt(0)
	global_atomic_cmpswap_x2 v[2:3], v8, v[12:15], s[6:7] offset:32 glc
	s_waitcnt vmcnt(0)
	v_cmp_ne_u64_e32 vcc, v[2:3], v[14:15]
	s_and_saveexec_b64 s[12:13], vcc
	s_cbranch_execz .LBB6_12
; %bb.10:
	s_mov_b64 s[14:15], 0
.LBB6_11:                               ; =>This Inner Loop Header: Depth=1
	s_sleep 1
	global_store_dwordx2 v[4:5], v[2:3], off
	v_mov_b32_e32 v0, s8
	v_mov_b32_e32 v1, s9
	buffer_wbl2
	s_waitcnt vmcnt(0)
	global_atomic_cmpswap_x2 v[0:1], v8, v[0:3], s[6:7] offset:32 glc
	s_waitcnt vmcnt(0)
	v_cmp_eq_u64_e32 vcc, v[0:1], v[2:3]
	s_or_b64 s[14:15], vcc, s[14:15]
	v_pk_mov_b32 v[2:3], v[0:1], v[0:1] op_sel:[0,1]
	s_andn2_b64 exec, exec, s[14:15]
	s_cbranch_execnz .LBB6_11
.LBB6_12:
	s_or_b64 exec, exec, s[12:13]
	v_mov_b32_e32 v3, 0
	global_load_dwordx2 v[0:1], v3, s[6:7] offset:16
	s_mov_b64 s[12:13], exec
	v_mbcnt_lo_u32_b32 v2, s12, 0
	v_mbcnt_hi_u32_b32 v2, s13, v2
	v_cmp_eq_u32_e32 vcc, 0, v2
	s_and_saveexec_b64 s[14:15], vcc
	s_cbranch_execz .LBB6_14
; %bb.13:
	s_bcnt1_i32_b64 s12, s[12:13]
	v_mov_b32_e32 v2, s12
	buffer_wbl2
	s_waitcnt vmcnt(0)
	global_atomic_add_x2 v[0:1], v[2:3], off offset:8
.LBB6_14:
	s_or_b64 exec, exec, s[14:15]
	s_waitcnt vmcnt(0)
	global_load_dwordx2 v[2:3], v[0:1], off offset:16
	s_waitcnt vmcnt(0)
	v_cmp_eq_u64_e32 vcc, 0, v[2:3]
	s_cbranch_vccnz .LBB6_16
; %bb.15:
	global_load_dword v0, v[0:1], off offset:24
	v_mov_b32_e32 v1, 0
	buffer_wbl2
	s_waitcnt vmcnt(0)
	global_store_dwordx2 v[2:3], v[0:1], off
	v_and_b32_e32 v0, 0xffffff, v0
	v_readfirstlane_b32 m0, v0
	s_sendmsg sendmsg(MSG_INTERRUPT)
.LBB6_16:
	s_or_b64 exec, exec, s[10:11]
	s_branch .LBB6_20
.LBB6_17:                               ;   in Loop: Header=BB6_20 Depth=1
	s_or_b64 exec, exec, s[10:11]
	v_readfirstlane_b32 s10, v0
	s_cmp_eq_u32 s10, 0
	s_cbranch_scc1 .LBB6_19
; %bb.18:                               ;   in Loop: Header=BB6_20 Depth=1
	s_sleep 1
	s_cbranch_execnz .LBB6_20
	s_branch .LBB6_22
.LBB6_19:
	s_branch .LBB6_22
.LBB6_20:                               ; =>This Inner Loop Header: Depth=1
	v_mov_b32_e32 v0, 1
	s_and_saveexec_b64 s[10:11], s[4:5]
	s_cbranch_execz .LBB6_17
; %bb.21:                               ;   in Loop: Header=BB6_20 Depth=1
	global_load_dword v0, v[10:11], off offset:20 glc
	s_waitcnt vmcnt(0)
	buffer_invl2
	buffer_wbinvl1_vol
	v_and_b32_e32 v0, 1, v0
	s_branch .LBB6_17
.LBB6_22:
	s_and_saveexec_b64 s[10:11], s[4:5]
	s_cbranch_execz .LBB6_25
; %bb.23:
	v_mov_b32_e32 v6, 0
	global_load_dwordx2 v[4:5], v6, s[6:7] offset:40
	global_load_dwordx2 v[8:9], v6, s[6:7] offset:24 glc
	global_load_dwordx2 v[10:11], v6, s[6:7]
	v_mov_b32_e32 v1, s9
	s_mov_b64 s[4:5], 0
	s_waitcnt vmcnt(2)
	v_add_co_u32_e32 v3, vcc, 1, v4
	v_addc_co_u32_e32 v7, vcc, 0, v5, vcc
	v_add_co_u32_e32 v0, vcc, s8, v3
	v_addc_co_u32_e32 v1, vcc, v7, v1, vcc
	v_cmp_eq_u64_e32 vcc, 0, v[0:1]
	v_cndmask_b32_e32 v1, v1, v7, vcc
	v_cndmask_b32_e32 v0, v0, v3, vcc
	v_and_b32_e32 v3, v1, v5
	v_and_b32_e32 v4, v0, v4
	v_mul_lo_u32 v3, v3, 24
	v_mul_hi_u32 v5, v4, 24
	v_mul_lo_u32 v4, v4, 24
	v_add_u32_e32 v3, v5, v3
	s_waitcnt vmcnt(0)
	v_add_co_u32_e32 v4, vcc, v10, v4
	v_addc_co_u32_e32 v5, vcc, v11, v3, vcc
	v_mov_b32_e32 v2, v8
	global_store_dwordx2 v[4:5], v[8:9], off
	v_mov_b32_e32 v3, v9
	buffer_wbl2
	s_waitcnt vmcnt(0)
	global_atomic_cmpswap_x2 v[2:3], v6, v[0:3], s[6:7] offset:24 glc
	s_waitcnt vmcnt(0)
	v_cmp_ne_u64_e32 vcc, v[2:3], v[8:9]
	s_and_b64 exec, exec, vcc
	s_cbranch_execz .LBB6_25
.LBB6_24:                               ; =>This Inner Loop Header: Depth=1
	s_sleep 1
	global_store_dwordx2 v[4:5], v[2:3], off
	buffer_wbl2
	s_waitcnt vmcnt(0)
	global_atomic_cmpswap_x2 v[8:9], v6, v[0:3], s[6:7] offset:24 glc
	s_waitcnt vmcnt(0)
	v_cmp_eq_u64_e32 vcc, v[8:9], v[2:3]
	s_or_b64 s[4:5], vcc, s[4:5]
	v_pk_mov_b32 v[2:3], v[8:9], v[8:9] op_sel:[0,1]
	s_andn2_b64 exec, exec, s[4:5]
	s_cbranch_execnz .LBB6_24
.LBB6_25:
	s_or_b64 exec, exec, s[10:11]
	s_waitcnt vmcnt(0) lgkmcnt(0)
	s_setpc_b64 s[30:31]
.Lfunc_end6:
	.size	__ockl_printf_append_args, .Lfunc_end6-__ockl_printf_append_args
                                        ; -- End function
	.section	.AMDGPU.csdata,"",@progbits
; Function info:
; codeLenInByte = 1284
; NumSgprs: 36
; NumVgprs: 16
; NumAgprs: 0
; TotalNumVgprs: 16
; ScratchSize: 0
; MemoryBound: 0
	.text
	.p2align	2                               ; -- Begin function _ZL14no_device_codePKciS0_iS0_
	.type	_ZL14no_device_codePKciS0_iS0_,@function
_ZL14no_device_codePKciS0_iS0_:         ; @_ZL14no_device_codePKciS0_iS0_
; %bb.0:
	s_waitcnt vmcnt(0) expcnt(0) lgkmcnt(0)
	s_mov_b32 s25, s33
	s_mov_b32 s33, s32
	s_xor_saveexec_b64 s[4:5], -1
	buffer_store_dword v38, off, s[0:3], s33 ; 4-byte Folded Spill
	s_mov_b64 exec, s[4:5]
	v_writelane_b32 v38, s30, 0
	s_addk_i32 s32, 0x400
	v_writelane_b32 v38, s31, 1
	s_load_dwordx2 s[6:7], s[8:9], 0x50
	v_mbcnt_lo_u32_b32 v0, -1, 0
	v_mbcnt_hi_u32_b32 v35, -1, v0
	v_readfirstlane_b32 s4, v35
	s_mov_b64 s[26:27], s[8:9]
	v_cmp_eq_u32_e64 s[4:5], s4, v35
	v_pk_mov_b32 v[6:7], 0, 0
	s_and_saveexec_b64 s[10:11], s[4:5]
	s_cbranch_execz .LBB7_6
; %bb.1:
	v_mov_b32_e32 v0, 0
	s_waitcnt lgkmcnt(0)
	global_load_dwordx2 v[4:5], v0, s[6:7] offset:24 glc
	s_waitcnt vmcnt(0)
	buffer_invl2
	buffer_wbinvl1_vol
	global_load_dwordx2 v[2:3], v0, s[6:7] offset:40
	global_load_dwordx2 v[6:7], v0, s[6:7]
	s_waitcnt vmcnt(1)
	v_and_b32_e32 v1, v2, v4
	v_and_b32_e32 v2, v3, v5
	v_mul_lo_u32 v2, v2, 24
	v_mul_hi_u32 v3, v1, 24
	v_mul_lo_u32 v1, v1, 24
	v_add_u32_e32 v3, v3, v2
	s_waitcnt vmcnt(0)
	v_add_co_u32_e32 v2, vcc, v6, v1
	v_addc_co_u32_e32 v3, vcc, v7, v3, vcc
	global_load_dwordx2 v[2:3], v[2:3], off glc
	s_waitcnt vmcnt(0)
	global_atomic_cmpswap_x2 v[6:7], v0, v[2:5], s[6:7] offset:24 glc
	s_waitcnt vmcnt(0)
	buffer_invl2
	buffer_wbinvl1_vol
	v_cmp_ne_u64_e32 vcc, v[6:7], v[4:5]
	s_and_saveexec_b64 s[12:13], vcc
	s_cbranch_execz .LBB7_5
; %bb.2:
	s_mov_b64 s[14:15], 0
.LBB7_3:                                ; =>This Inner Loop Header: Depth=1
	s_sleep 1
	global_load_dwordx2 v[2:3], v0, s[6:7] offset:40
	global_load_dwordx2 v[8:9], v0, s[6:7]
	v_pk_mov_b32 v[4:5], v[6:7], v[6:7] op_sel:[0,1]
	s_waitcnt vmcnt(1)
	v_and_b32_e32 v2, v2, v4
	v_and_b32_e32 v1, v3, v5
	s_waitcnt vmcnt(0)
	v_mad_u64_u32 v[2:3], s[16:17], v2, 24, v[8:9]
	v_mov_b32_e32 v6, v3
	v_mad_u64_u32 v[6:7], s[16:17], v1, 24, v[6:7]
	v_mov_b32_e32 v3, v6
	global_load_dwordx2 v[2:3], v[2:3], off glc
	s_waitcnt vmcnt(0)
	global_atomic_cmpswap_x2 v[6:7], v0, v[2:5], s[6:7] offset:24 glc
	s_waitcnt vmcnt(0)
	buffer_invl2
	buffer_wbinvl1_vol
	v_cmp_eq_u64_e32 vcc, v[6:7], v[4:5]
	s_or_b64 s[14:15], vcc, s[14:15]
	s_andn2_b64 exec, exec, s[14:15]
	s_cbranch_execnz .LBB7_3
; %bb.4:
	s_or_b64 exec, exec, s[14:15]
.LBB7_5:
	s_or_b64 exec, exec, s[12:13]
.LBB7_6:
	s_or_b64 exec, exec, s[10:11]
	v_mov_b32_e32 v5, 0
	s_waitcnt lgkmcnt(0)
	global_load_dwordx2 v[8:9], v5, s[6:7] offset:40
	global_load_dwordx4 v[0:3], v5, s[6:7]
	v_readfirstlane_b32 s10, v6
	v_readfirstlane_b32 s11, v7
	s_mov_b64 s[12:13], exec
	s_waitcnt vmcnt(1)
	v_readfirstlane_b32 s14, v8
	v_readfirstlane_b32 s15, v9
	s_and_b64 s[14:15], s[10:11], s[14:15]
	s_mul_i32 s16, s15, 24
	s_mul_hi_u32 s17, s14, 24
	s_mul_i32 s18, s14, 24
	s_add_i32 s16, s17, s16
	v_mov_b32_e32 v4, s16
	s_waitcnt vmcnt(0)
	v_add_co_u32_e32 v8, vcc, s18, v0
	v_addc_co_u32_e32 v9, vcc, v1, v4, vcc
	s_and_saveexec_b64 s[16:17], s[4:5]
	s_cbranch_execz .LBB7_8
; %bb.7:
	v_pk_mov_b32 v[10:11], s[12:13], s[12:13] op_sel:[0,1]
	v_mov_b32_e32 v12, 2
	v_mov_b32_e32 v13, 1
	global_store_dwordx4 v[8:9], v[10:13], off offset:8
.LBB7_8:
	s_or_b64 exec, exec, s[16:17]
	s_lshl_b64 s[12:13], s[14:15], 12
	v_mov_b32_e32 v4, s13
	v_add_co_u32_e32 v2, vcc, s12, v2
	v_addc_co_u32_e32 v3, vcc, v3, v4, vcc
	s_mov_b32 s12, 0
	v_lshlrev_b32_e32 v34, 6, v35
	v_add_co_u32_e32 v10, vcc, v2, v34
	v_mov_b32_e32 v4, 33
	v_mov_b32_e32 v6, v5
	;; [unrolled: 1-line block ×3, first 2 shown]
	v_readfirstlane_b32 s16, v2
	v_readfirstlane_b32 s17, v3
	s_mov_b32 s13, s12
	v_addc_co_u32_e32 v11, vcc, 0, v3, vcc
	s_mov_b32 s14, s12
	s_mov_b32 s15, s12
	s_nop 0
	global_store_dwordx4 v34, v[4:7], s[16:17]
	v_pk_mov_b32 v[2:3], s[12:13], s[12:13] op_sel:[0,1]
	v_pk_mov_b32 v[4:5], s[14:15], s[14:15] op_sel:[0,1]
	global_store_dwordx4 v34, v[2:5], s[16:17] offset:16
	global_store_dwordx4 v34, v[2:5], s[16:17] offset:32
	;; [unrolled: 1-line block ×3, first 2 shown]
	s_and_saveexec_b64 s[12:13], s[4:5]
	s_cbranch_execz .LBB7_16
; %bb.9:
	v_mov_b32_e32 v6, 0
	global_load_dwordx2 v[14:15], v6, s[6:7] offset:32 glc
	global_load_dwordx2 v[2:3], v6, s[6:7] offset:40
	v_mov_b32_e32 v12, s10
	v_mov_b32_e32 v13, s11
	s_waitcnt vmcnt(0)
	v_and_b32_e32 v2, s10, v2
	v_and_b32_e32 v3, s11, v3
	v_mul_lo_u32 v3, v3, 24
	v_mul_hi_u32 v4, v2, 24
	v_mul_lo_u32 v2, v2, 24
	v_add_u32_e32 v3, v4, v3
	v_add_co_u32_e32 v4, vcc, v0, v2
	v_addc_co_u32_e32 v5, vcc, v1, v3, vcc
	global_store_dwordx2 v[4:5], v[14:15], off
	buffer_wbl2
	s_waitcnt vmcnt(0)
	global_atomic_cmpswap_x2 v[2:3], v6, v[12:15], s[6:7] offset:32 glc
	s_waitcnt vmcnt(0)
	v_cmp_ne_u64_e32 vcc, v[2:3], v[14:15]
	s_and_saveexec_b64 s[14:15], vcc
	s_cbranch_execz .LBB7_12
; %bb.10:
	s_mov_b64 s[16:17], 0
.LBB7_11:                               ; =>This Inner Loop Header: Depth=1
	s_sleep 1
	global_store_dwordx2 v[4:5], v[2:3], off
	v_mov_b32_e32 v0, s10
	v_mov_b32_e32 v1, s11
	buffer_wbl2
	s_waitcnt vmcnt(0)
	global_atomic_cmpswap_x2 v[0:1], v6, v[0:3], s[6:7] offset:32 glc
	s_waitcnt vmcnt(0)
	v_cmp_eq_u64_e32 vcc, v[0:1], v[2:3]
	s_or_b64 s[16:17], vcc, s[16:17]
	v_pk_mov_b32 v[2:3], v[0:1], v[0:1] op_sel:[0,1]
	s_andn2_b64 exec, exec, s[16:17]
	s_cbranch_execnz .LBB7_11
.LBB7_12:
	s_or_b64 exec, exec, s[14:15]
	v_mov_b32_e32 v3, 0
	global_load_dwordx2 v[0:1], v3, s[6:7] offset:16
	s_mov_b64 s[14:15], exec
	v_mbcnt_lo_u32_b32 v2, s14, 0
	v_mbcnt_hi_u32_b32 v2, s15, v2
	v_cmp_eq_u32_e32 vcc, 0, v2
	s_and_saveexec_b64 s[16:17], vcc
	s_cbranch_execz .LBB7_14
; %bb.13:
	s_bcnt1_i32_b64 s14, s[14:15]
	v_mov_b32_e32 v2, s14
	buffer_wbl2
	s_waitcnt vmcnt(0)
	global_atomic_add_x2 v[0:1], v[2:3], off offset:8
.LBB7_14:
	s_or_b64 exec, exec, s[16:17]
	s_waitcnt vmcnt(0)
	global_load_dwordx2 v[2:3], v[0:1], off offset:16
	s_waitcnt vmcnt(0)
	v_cmp_eq_u64_e32 vcc, 0, v[2:3]
	s_cbranch_vccnz .LBB7_16
; %bb.15:
	global_load_dword v0, v[0:1], off offset:24
	v_mov_b32_e32 v1, 0
	buffer_wbl2
	s_waitcnt vmcnt(0)
	global_store_dwordx2 v[2:3], v[0:1], off
	v_and_b32_e32 v0, 0xffffff, v0
	v_readfirstlane_b32 m0, v0
	s_sendmsg sendmsg(MSG_INTERRUPT)
.LBB7_16:
	s_or_b64 exec, exec, s[12:13]
	s_branch .LBB7_20
.LBB7_17:                               ;   in Loop: Header=BB7_20 Depth=1
	s_or_b64 exec, exec, s[12:13]
	v_readfirstlane_b32 s12, v0
	s_cmp_eq_u32 s12, 0
	s_cbranch_scc1 .LBB7_19
; %bb.18:                               ;   in Loop: Header=BB7_20 Depth=1
	s_sleep 1
	s_cbranch_execnz .LBB7_20
	s_branch .LBB7_22
.LBB7_19:
	s_branch .LBB7_22
.LBB7_20:                               ; =>This Inner Loop Header: Depth=1
	v_mov_b32_e32 v0, 1
	s_and_saveexec_b64 s[12:13], s[4:5]
	s_cbranch_execz .LBB7_17
; %bb.21:                               ;   in Loop: Header=BB7_20 Depth=1
	global_load_dword v0, v[8:9], off offset:20 glc
	s_waitcnt vmcnt(0)
	buffer_invl2
	buffer_wbinvl1_vol
	v_and_b32_e32 v0, 1, v0
	s_branch .LBB7_17
.LBB7_22:
	global_load_dwordx2 v[4:5], v[10:11], off
	s_and_saveexec_b64 s[12:13], s[4:5]
	s_cbranch_execz .LBB7_25
; %bb.23:
	v_mov_b32_e32 v8, 0
	global_load_dwordx2 v[6:7], v8, s[6:7] offset:40
	global_load_dwordx2 v[10:11], v8, s[6:7] offset:24 glc
	global_load_dwordx2 v[12:13], v8, s[6:7]
	v_mov_b32_e32 v1, s11
	s_mov_b64 s[4:5], 0
	s_waitcnt vmcnt(2)
	v_add_co_u32_e32 v3, vcc, 1, v6
	v_addc_co_u32_e32 v9, vcc, 0, v7, vcc
	v_add_co_u32_e32 v0, vcc, s10, v3
	v_addc_co_u32_e32 v1, vcc, v9, v1, vcc
	v_cmp_eq_u64_e32 vcc, 0, v[0:1]
	v_cndmask_b32_e32 v1, v1, v9, vcc
	v_cndmask_b32_e32 v0, v0, v3, vcc
	v_and_b32_e32 v3, v1, v7
	v_and_b32_e32 v6, v0, v6
	v_mul_lo_u32 v3, v3, 24
	v_mul_hi_u32 v7, v6, 24
	v_mul_lo_u32 v6, v6, 24
	v_add_u32_e32 v3, v7, v3
	s_waitcnt vmcnt(0)
	v_add_co_u32_e32 v6, vcc, v12, v6
	v_addc_co_u32_e32 v7, vcc, v13, v3, vcc
	v_mov_b32_e32 v2, v10
	global_store_dwordx2 v[6:7], v[10:11], off
	v_mov_b32_e32 v3, v11
	buffer_wbl2
	s_waitcnt vmcnt(0)
	global_atomic_cmpswap_x2 v[2:3], v8, v[0:3], s[6:7] offset:24 glc
	s_waitcnt vmcnt(0)
	v_cmp_ne_u64_e32 vcc, v[2:3], v[10:11]
	s_and_b64 exec, exec, vcc
	s_cbranch_execz .LBB7_25
.LBB7_24:                               ; =>This Inner Loop Header: Depth=1
	s_sleep 1
	global_store_dwordx2 v[6:7], v[2:3], off
	buffer_wbl2
	s_waitcnt vmcnt(0)
	global_atomic_cmpswap_x2 v[10:11], v8, v[0:3], s[6:7] offset:24 glc
	s_waitcnt vmcnt(0)
	v_cmp_eq_u64_e32 vcc, v[10:11], v[2:3]
	s_or_b64 s[4:5], vcc, s[4:5]
	v_pk_mov_b32 v[2:3], v[10:11], v[10:11] op_sel:[0,1]
	s_andn2_b64 exec, exec, s[4:5]
	s_cbranch_execnz .LBB7_24
.LBB7_25:
	s_or_b64 exec, exec, s[12:13]
	s_getpc_b64 s[10:11]
	s_add_u32 s10, s10, .str.3@rel32@lo+4
	s_addc_u32 s11, s11, .str.3@rel32@hi+12
	s_cmp_lg_u64 s[10:11], 0
	s_cbranch_scc0 .LBB7_109
; %bb.26:
	s_waitcnt vmcnt(0)
	v_and_b32_e32 v26, 2, v4
	v_mov_b32_e32 v29, 0
	v_and_b32_e32 v0, -3, v4
	v_mov_b32_e32 v1, v5
	s_mov_b64 s[12:13], 0x4d
	v_mov_b32_e32 v8, 2
	v_mov_b32_e32 v9, 1
	s_branch .LBB7_28
.LBB7_27:                               ;   in Loop: Header=BB7_28 Depth=1
	s_or_b64 exec, exec, s[18:19]
	s_sub_u32 s12, s12, s14
	s_subb_u32 s13, s13, s15
	s_add_u32 s10, s10, s14
	s_addc_u32 s11, s11, s15
	s_cmp_lg_u64 s[12:13], 0
	s_cbranch_scc0 .LBB7_110
.LBB7_28:                               ; =>This Loop Header: Depth=1
                                        ;     Child Loop BB7_31 Depth 2
                                        ;     Child Loop BB7_38 Depth 2
	;; [unrolled: 1-line block ×11, first 2 shown]
	v_cmp_lt_u64_e64 s[4:5], s[12:13], 56
	s_and_b64 s[4:5], s[4:5], exec
	v_cmp_gt_u64_e64 s[4:5], s[12:13], 7
	s_cselect_b32 s15, s13, 0
	s_cselect_b32 s14, s12, 56
	s_and_b64 vcc, exec, s[4:5]
	s_cbranch_vccnz .LBB7_33
; %bb.29:                               ;   in Loop: Header=BB7_28 Depth=1
	s_mov_b64 s[4:5], 0
	s_cmp_eq_u64 s[12:13], 0
	s_waitcnt vmcnt(0)
	v_pk_mov_b32 v[2:3], 0, 0
	s_cbranch_scc1 .LBB7_32
; %bb.30:                               ;   in Loop: Header=BB7_28 Depth=1
	s_lshl_b64 s[16:17], s[14:15], 3
	s_mov_b64 s[18:19], 0
	v_pk_mov_b32 v[2:3], 0, 0
	s_mov_b64 s[20:21], s[10:11]
.LBB7_31:                               ;   Parent Loop BB7_28 Depth=1
                                        ; =>  This Inner Loop Header: Depth=2
	global_load_ubyte v6, v29, s[20:21]
	s_waitcnt vmcnt(0)
	v_and_b32_e32 v28, 0xffff, v6
	v_lshlrev_b64 v[6:7], s18, v[28:29]
	s_add_u32 s18, s18, 8
	s_addc_u32 s19, s19, 0
	s_add_u32 s20, s20, 1
	s_addc_u32 s21, s21, 0
	v_or_b32_e32 v2, v6, v2
	s_cmp_lg_u32 s16, s18
	v_or_b32_e32 v3, v7, v3
	s_cbranch_scc1 .LBB7_31
.LBB7_32:                               ;   in Loop: Header=BB7_28 Depth=1
	s_mov_b32 s20, 0
	s_andn2_b64 vcc, exec, s[4:5]
	s_mov_b64 s[4:5], s[10:11]
	s_cbranch_vccz .LBB7_34
	s_branch .LBB7_35
.LBB7_33:                               ;   in Loop: Header=BB7_28 Depth=1
                                        ; implicit-def: $vgpr2_vgpr3
                                        ; implicit-def: $sgpr20
	s_mov_b64 s[4:5], s[10:11]
.LBB7_34:                               ;   in Loop: Header=BB7_28 Depth=1
	global_load_dwordx2 v[2:3], v29, s[10:11]
	s_add_i32 s20, s14, -8
	s_add_u32 s4, s10, 8
	s_addc_u32 s5, s11, 0
.LBB7_35:                               ;   in Loop: Header=BB7_28 Depth=1
	s_cmp_gt_u32 s20, 7
	s_cbranch_scc1 .LBB7_39
; %bb.36:                               ;   in Loop: Header=BB7_28 Depth=1
	s_cmp_eq_u32 s20, 0
	s_cbranch_scc1 .LBB7_40
; %bb.37:                               ;   in Loop: Header=BB7_28 Depth=1
	s_mov_b64 s[16:17], 0
	v_pk_mov_b32 v[10:11], 0, 0
	s_mov_b64 s[18:19], 0
.LBB7_38:                               ;   Parent Loop BB7_28 Depth=1
                                        ; =>  This Inner Loop Header: Depth=2
	s_add_u32 s22, s4, s18
	s_addc_u32 s23, s5, s19
	global_load_ubyte v6, v29, s[22:23]
	s_add_u32 s18, s18, 1
	s_addc_u32 s19, s19, 0
	s_waitcnt vmcnt(0)
	v_and_b32_e32 v28, 0xffff, v6
	v_lshlrev_b64 v[6:7], s16, v[28:29]
	s_add_u32 s16, s16, 8
	s_addc_u32 s17, s17, 0
	v_or_b32_e32 v10, v6, v10
	s_cmp_lg_u32 s20, s18
	v_or_b32_e32 v11, v7, v11
	s_cbranch_scc1 .LBB7_38
	s_branch .LBB7_41
.LBB7_39:                               ;   in Loop: Header=BB7_28 Depth=1
                                        ; implicit-def: $vgpr10_vgpr11
                                        ; implicit-def: $sgpr21
	s_branch .LBB7_42
.LBB7_40:                               ;   in Loop: Header=BB7_28 Depth=1
	v_pk_mov_b32 v[10:11], 0, 0
.LBB7_41:                               ;   in Loop: Header=BB7_28 Depth=1
	s_mov_b32 s21, 0
	s_cbranch_execnz .LBB7_43
.LBB7_42:                               ;   in Loop: Header=BB7_28 Depth=1
	global_load_dwordx2 v[10:11], v29, s[4:5]
	s_add_i32 s21, s20, -8
	s_add_u32 s4, s4, 8
	s_addc_u32 s5, s5, 0
.LBB7_43:                               ;   in Loop: Header=BB7_28 Depth=1
	s_cmp_gt_u32 s21, 7
	s_cbranch_scc1 .LBB7_47
; %bb.44:                               ;   in Loop: Header=BB7_28 Depth=1
	s_cmp_eq_u32 s21, 0
	s_cbranch_scc1 .LBB7_48
; %bb.45:                               ;   in Loop: Header=BB7_28 Depth=1
	s_mov_b64 s[16:17], 0
	v_pk_mov_b32 v[12:13], 0, 0
	s_mov_b64 s[18:19], 0
.LBB7_46:                               ;   Parent Loop BB7_28 Depth=1
                                        ; =>  This Inner Loop Header: Depth=2
	s_add_u32 s22, s4, s18
	s_addc_u32 s23, s5, s19
	global_load_ubyte v6, v29, s[22:23]
	s_add_u32 s18, s18, 1
	s_addc_u32 s19, s19, 0
	s_waitcnt vmcnt(0)
	v_and_b32_e32 v28, 0xffff, v6
	v_lshlrev_b64 v[6:7], s16, v[28:29]
	s_add_u32 s16, s16, 8
	s_addc_u32 s17, s17, 0
	v_or_b32_e32 v12, v6, v12
	s_cmp_lg_u32 s21, s18
	v_or_b32_e32 v13, v7, v13
	s_cbranch_scc1 .LBB7_46
	s_branch .LBB7_49
.LBB7_47:                               ;   in Loop: Header=BB7_28 Depth=1
                                        ; implicit-def: $sgpr20
	s_branch .LBB7_50
.LBB7_48:                               ;   in Loop: Header=BB7_28 Depth=1
	v_pk_mov_b32 v[12:13], 0, 0
.LBB7_49:                               ;   in Loop: Header=BB7_28 Depth=1
	s_mov_b32 s20, 0
	s_cbranch_execnz .LBB7_51
.LBB7_50:                               ;   in Loop: Header=BB7_28 Depth=1
	global_load_dwordx2 v[12:13], v29, s[4:5]
	s_add_i32 s20, s21, -8
	s_add_u32 s4, s4, 8
	s_addc_u32 s5, s5, 0
.LBB7_51:                               ;   in Loop: Header=BB7_28 Depth=1
	s_cmp_gt_u32 s20, 7
	s_cbranch_scc1 .LBB7_55
; %bb.52:                               ;   in Loop: Header=BB7_28 Depth=1
	s_cmp_eq_u32 s20, 0
	s_cbranch_scc1 .LBB7_56
; %bb.53:                               ;   in Loop: Header=BB7_28 Depth=1
	s_mov_b64 s[16:17], 0
	v_pk_mov_b32 v[14:15], 0, 0
	s_mov_b64 s[18:19], 0
.LBB7_54:                               ;   Parent Loop BB7_28 Depth=1
                                        ; =>  This Inner Loop Header: Depth=2
	s_add_u32 s22, s4, s18
	s_addc_u32 s23, s5, s19
	global_load_ubyte v6, v29, s[22:23]
	s_add_u32 s18, s18, 1
	s_addc_u32 s19, s19, 0
	s_waitcnt vmcnt(0)
	v_and_b32_e32 v28, 0xffff, v6
	v_lshlrev_b64 v[6:7], s16, v[28:29]
	s_add_u32 s16, s16, 8
	s_addc_u32 s17, s17, 0
	v_or_b32_e32 v14, v6, v14
	s_cmp_lg_u32 s20, s18
	v_or_b32_e32 v15, v7, v15
	s_cbranch_scc1 .LBB7_54
	s_branch .LBB7_57
.LBB7_55:                               ;   in Loop: Header=BB7_28 Depth=1
                                        ; implicit-def: $vgpr14_vgpr15
                                        ; implicit-def: $sgpr21
	s_branch .LBB7_58
.LBB7_56:                               ;   in Loop: Header=BB7_28 Depth=1
	v_pk_mov_b32 v[14:15], 0, 0
.LBB7_57:                               ;   in Loop: Header=BB7_28 Depth=1
	s_mov_b32 s21, 0
	s_cbranch_execnz .LBB7_59
.LBB7_58:                               ;   in Loop: Header=BB7_28 Depth=1
	global_load_dwordx2 v[14:15], v29, s[4:5]
	s_add_i32 s21, s20, -8
	s_add_u32 s4, s4, 8
	s_addc_u32 s5, s5, 0
.LBB7_59:                               ;   in Loop: Header=BB7_28 Depth=1
	s_cmp_gt_u32 s21, 7
	s_cbranch_scc1 .LBB7_63
; %bb.60:                               ;   in Loop: Header=BB7_28 Depth=1
	s_cmp_eq_u32 s21, 0
	s_cbranch_scc1 .LBB7_64
; %bb.61:                               ;   in Loop: Header=BB7_28 Depth=1
	s_mov_b64 s[16:17], 0
	v_pk_mov_b32 v[16:17], 0, 0
	s_mov_b64 s[18:19], 0
.LBB7_62:                               ;   Parent Loop BB7_28 Depth=1
                                        ; =>  This Inner Loop Header: Depth=2
	s_add_u32 s22, s4, s18
	s_addc_u32 s23, s5, s19
	global_load_ubyte v6, v29, s[22:23]
	s_add_u32 s18, s18, 1
	s_addc_u32 s19, s19, 0
	s_waitcnt vmcnt(0)
	v_and_b32_e32 v28, 0xffff, v6
	v_lshlrev_b64 v[6:7], s16, v[28:29]
	s_add_u32 s16, s16, 8
	s_addc_u32 s17, s17, 0
	v_or_b32_e32 v16, v6, v16
	s_cmp_lg_u32 s21, s18
	v_or_b32_e32 v17, v7, v17
	s_cbranch_scc1 .LBB7_62
	s_branch .LBB7_65
.LBB7_63:                               ;   in Loop: Header=BB7_28 Depth=1
                                        ; implicit-def: $sgpr20
	s_branch .LBB7_66
.LBB7_64:                               ;   in Loop: Header=BB7_28 Depth=1
	v_pk_mov_b32 v[16:17], 0, 0
.LBB7_65:                               ;   in Loop: Header=BB7_28 Depth=1
	s_mov_b32 s20, 0
	s_cbranch_execnz .LBB7_67
.LBB7_66:                               ;   in Loop: Header=BB7_28 Depth=1
	global_load_dwordx2 v[16:17], v29, s[4:5]
	s_add_i32 s20, s21, -8
	s_add_u32 s4, s4, 8
	s_addc_u32 s5, s5, 0
.LBB7_67:                               ;   in Loop: Header=BB7_28 Depth=1
	s_cmp_gt_u32 s20, 7
	s_cbranch_scc1 .LBB7_71
; %bb.68:                               ;   in Loop: Header=BB7_28 Depth=1
	s_cmp_eq_u32 s20, 0
	s_cbranch_scc1 .LBB7_72
; %bb.69:                               ;   in Loop: Header=BB7_28 Depth=1
	s_mov_b64 s[16:17], 0
	v_pk_mov_b32 v[18:19], 0, 0
	s_mov_b64 s[18:19], 0
.LBB7_70:                               ;   Parent Loop BB7_28 Depth=1
                                        ; =>  This Inner Loop Header: Depth=2
	s_add_u32 s22, s4, s18
	s_addc_u32 s23, s5, s19
	global_load_ubyte v6, v29, s[22:23]
	s_add_u32 s18, s18, 1
	s_addc_u32 s19, s19, 0
	s_waitcnt vmcnt(0)
	v_and_b32_e32 v28, 0xffff, v6
	v_lshlrev_b64 v[6:7], s16, v[28:29]
	s_add_u32 s16, s16, 8
	s_addc_u32 s17, s17, 0
	v_or_b32_e32 v18, v6, v18
	s_cmp_lg_u32 s20, s18
	v_or_b32_e32 v19, v7, v19
	s_cbranch_scc1 .LBB7_70
	s_branch .LBB7_73
.LBB7_71:                               ;   in Loop: Header=BB7_28 Depth=1
                                        ; implicit-def: $vgpr18_vgpr19
                                        ; implicit-def: $sgpr21
	s_branch .LBB7_74
.LBB7_72:                               ;   in Loop: Header=BB7_28 Depth=1
	v_pk_mov_b32 v[18:19], 0, 0
.LBB7_73:                               ;   in Loop: Header=BB7_28 Depth=1
	s_mov_b32 s21, 0
	s_cbranch_execnz .LBB7_75
.LBB7_74:                               ;   in Loop: Header=BB7_28 Depth=1
	global_load_dwordx2 v[18:19], v29, s[4:5]
	s_add_i32 s21, s20, -8
	s_add_u32 s4, s4, 8
	s_addc_u32 s5, s5, 0
.LBB7_75:                               ;   in Loop: Header=BB7_28 Depth=1
	s_cmp_gt_u32 s21, 7
	s_cbranch_scc1 .LBB7_79
; %bb.76:                               ;   in Loop: Header=BB7_28 Depth=1
	s_cmp_eq_u32 s21, 0
	s_cbranch_scc1 .LBB7_80
; %bb.77:                               ;   in Loop: Header=BB7_28 Depth=1
	s_mov_b64 s[16:17], 0
	v_pk_mov_b32 v[20:21], 0, 0
	s_mov_b64 s[18:19], s[4:5]
.LBB7_78:                               ;   Parent Loop BB7_28 Depth=1
                                        ; =>  This Inner Loop Header: Depth=2
	global_load_ubyte v6, v29, s[18:19]
	s_add_i32 s21, s21, -1
	s_waitcnt vmcnt(0)
	v_and_b32_e32 v28, 0xffff, v6
	v_lshlrev_b64 v[6:7], s16, v[28:29]
	s_add_u32 s16, s16, 8
	s_addc_u32 s17, s17, 0
	s_add_u32 s18, s18, 1
	s_addc_u32 s19, s19, 0
	v_or_b32_e32 v20, v6, v20
	s_cmp_lg_u32 s21, 0
	v_or_b32_e32 v21, v7, v21
	s_cbranch_scc1 .LBB7_78
	s_branch .LBB7_81
.LBB7_79:                               ;   in Loop: Header=BB7_28 Depth=1
	s_branch .LBB7_82
.LBB7_80:                               ;   in Loop: Header=BB7_28 Depth=1
	v_pk_mov_b32 v[20:21], 0, 0
.LBB7_81:                               ;   in Loop: Header=BB7_28 Depth=1
	s_cbranch_execnz .LBB7_83
.LBB7_82:                               ;   in Loop: Header=BB7_28 Depth=1
	global_load_dwordx2 v[20:21], v29, s[4:5]
.LBB7_83:                               ;   in Loop: Header=BB7_28 Depth=1
	v_readfirstlane_b32 s4, v35
	v_cmp_eq_u32_e64 s[4:5], s4, v35
	v_pk_mov_b32 v[6:7], 0, 0
	s_and_saveexec_b64 s[16:17], s[4:5]
	s_cbranch_execz .LBB7_89
; %bb.84:                               ;   in Loop: Header=BB7_28 Depth=1
	global_load_dwordx2 v[24:25], v29, s[6:7] offset:24 glc
	s_waitcnt vmcnt(0)
	buffer_invl2
	buffer_wbinvl1_vol
	global_load_dwordx2 v[6:7], v29, s[6:7] offset:40
	global_load_dwordx2 v[22:23], v29, s[6:7]
	s_waitcnt vmcnt(1)
	v_and_b32_e32 v6, v6, v24
	v_and_b32_e32 v7, v7, v25
	v_mul_lo_u32 v7, v7, 24
	v_mul_hi_u32 v27, v6, 24
	v_mul_lo_u32 v6, v6, 24
	v_add_u32_e32 v7, v27, v7
	s_waitcnt vmcnt(0)
	v_add_co_u32_e32 v6, vcc, v22, v6
	v_addc_co_u32_e32 v7, vcc, v23, v7, vcc
	global_load_dwordx2 v[22:23], v[6:7], off glc
	s_waitcnt vmcnt(0)
	global_atomic_cmpswap_x2 v[6:7], v29, v[22:25], s[6:7] offset:24 glc
	s_waitcnt vmcnt(0)
	buffer_invl2
	buffer_wbinvl1_vol
	v_cmp_ne_u64_e32 vcc, v[6:7], v[24:25]
	s_and_saveexec_b64 s[18:19], vcc
	s_cbranch_execz .LBB7_88
; %bb.85:                               ;   in Loop: Header=BB7_28 Depth=1
	s_mov_b64 s[20:21], 0
.LBB7_86:                               ;   Parent Loop BB7_28 Depth=1
                                        ; =>  This Inner Loop Header: Depth=2
	s_sleep 1
	global_load_dwordx2 v[22:23], v29, s[6:7] offset:40
	global_load_dwordx2 v[30:31], v29, s[6:7]
	v_pk_mov_b32 v[24:25], v[6:7], v[6:7] op_sel:[0,1]
	s_waitcnt vmcnt(1)
	v_and_b32_e32 v6, v22, v24
	s_waitcnt vmcnt(0)
	v_mad_u64_u32 v[6:7], s[22:23], v6, 24, v[30:31]
	v_and_b32_e32 v23, v23, v25
	v_mov_b32_e32 v22, v7
	v_mad_u64_u32 v[22:23], s[22:23], v23, 24, v[22:23]
	v_mov_b32_e32 v7, v22
	global_load_dwordx2 v[22:23], v[6:7], off glc
	s_waitcnt vmcnt(0)
	global_atomic_cmpswap_x2 v[6:7], v29, v[22:25], s[6:7] offset:24 glc
	s_waitcnt vmcnt(0)
	buffer_invl2
	buffer_wbinvl1_vol
	v_cmp_eq_u64_e32 vcc, v[6:7], v[24:25]
	s_or_b64 s[20:21], vcc, s[20:21]
	s_andn2_b64 exec, exec, s[20:21]
	s_cbranch_execnz .LBB7_86
; %bb.87:                               ;   in Loop: Header=BB7_28 Depth=1
	s_or_b64 exec, exec, s[20:21]
.LBB7_88:                               ;   in Loop: Header=BB7_28 Depth=1
	s_or_b64 exec, exec, s[18:19]
.LBB7_89:                               ;   in Loop: Header=BB7_28 Depth=1
	s_or_b64 exec, exec, s[16:17]
	global_load_dwordx2 v[30:31], v29, s[6:7] offset:40
	global_load_dwordx4 v[22:25], v29, s[6:7]
	v_readfirstlane_b32 s16, v6
	v_readfirstlane_b32 s17, v7
	s_mov_b64 s[18:19], exec
	s_waitcnt vmcnt(1)
	v_readfirstlane_b32 s20, v30
	v_readfirstlane_b32 s21, v31
	s_and_b64 s[20:21], s[16:17], s[20:21]
	s_mul_i32 s22, s21, 24
	s_mul_hi_u32 s23, s20, 24
	s_mul_i32 s24, s20, 24
	s_add_i32 s22, s23, s22
	v_mov_b32_e32 v6, s22
	s_waitcnt vmcnt(0)
	v_add_co_u32_e32 v30, vcc, s24, v22
	v_addc_co_u32_e32 v31, vcc, v23, v6, vcc
	s_and_saveexec_b64 s[22:23], s[4:5]
	s_cbranch_execz .LBB7_91
; %bb.90:                               ;   in Loop: Header=BB7_28 Depth=1
	v_pk_mov_b32 v[6:7], s[18:19], s[18:19] op_sel:[0,1]
	global_store_dwordx4 v[30:31], v[6:9], off offset:8
.LBB7_91:                               ;   in Loop: Header=BB7_28 Depth=1
	s_or_b64 exec, exec, s[22:23]
	s_lshl_b64 s[18:19], s[20:21], 12
	v_mov_b32_e32 v7, s19
	v_add_co_u32_e32 v6, vcc, s18, v24
	v_addc_co_u32_e32 v7, vcc, v25, v7, vcc
	v_or_b32_e32 v25, v0, v26
	v_cmp_gt_u64_e64 vcc, s[12:13], 56
	s_lshl_b32 s18, s14, 2
	v_cndmask_b32_e32 v0, v25, v0, vcc
	s_add_i32 s18, s18, 28
	v_or_b32_e32 v24, 0, v1
	s_and_b32 s18, s18, 0x1e0
	v_and_b32_e32 v0, 0xffffff1f, v0
	v_cndmask_b32_e32 v1, v24, v1, vcc
	v_or_b32_e32 v0, s18, v0
	v_readfirstlane_b32 s18, v6
	v_readfirstlane_b32 s19, v7
	s_nop 4
	global_store_dwordx4 v34, v[0:3], s[18:19]
	global_store_dwordx4 v34, v[10:13], s[18:19] offset:16
	global_store_dwordx4 v34, v[14:17], s[18:19] offset:32
	;; [unrolled: 1-line block ×3, first 2 shown]
	s_and_saveexec_b64 s[18:19], s[4:5]
	s_cbranch_execz .LBB7_99
; %bb.92:                               ;   in Loop: Header=BB7_28 Depth=1
	global_load_dwordx2 v[14:15], v29, s[6:7] offset:32 glc
	global_load_dwordx2 v[0:1], v29, s[6:7] offset:40
	v_mov_b32_e32 v12, s16
	v_mov_b32_e32 v13, s17
	s_waitcnt vmcnt(0)
	v_readfirstlane_b32 s20, v0
	v_readfirstlane_b32 s21, v1
	s_and_b64 s[20:21], s[20:21], s[16:17]
	s_mul_i32 s21, s21, 24
	s_mul_hi_u32 s22, s20, 24
	s_mul_i32 s20, s20, 24
	s_add_i32 s21, s22, s21
	v_mov_b32_e32 v0, s21
	v_add_co_u32_e32 v10, vcc, s20, v22
	v_addc_co_u32_e32 v11, vcc, v23, v0, vcc
	global_store_dwordx2 v[10:11], v[14:15], off
	buffer_wbl2
	s_waitcnt vmcnt(0)
	global_atomic_cmpswap_x2 v[2:3], v29, v[12:15], s[6:7] offset:32 glc
	s_waitcnt vmcnt(0)
	v_cmp_ne_u64_e32 vcc, v[2:3], v[14:15]
	s_and_saveexec_b64 s[20:21], vcc
	s_cbranch_execz .LBB7_95
; %bb.93:                               ;   in Loop: Header=BB7_28 Depth=1
	s_mov_b64 s[22:23], 0
.LBB7_94:                               ;   Parent Loop BB7_28 Depth=1
                                        ; =>  This Inner Loop Header: Depth=2
	s_sleep 1
	global_store_dwordx2 v[10:11], v[2:3], off
	v_mov_b32_e32 v0, s16
	v_mov_b32_e32 v1, s17
	buffer_wbl2
	s_waitcnt vmcnt(0)
	global_atomic_cmpswap_x2 v[0:1], v29, v[0:3], s[6:7] offset:32 glc
	s_waitcnt vmcnt(0)
	v_cmp_eq_u64_e32 vcc, v[0:1], v[2:3]
	s_or_b64 s[22:23], vcc, s[22:23]
	v_pk_mov_b32 v[2:3], v[0:1], v[0:1] op_sel:[0,1]
	s_andn2_b64 exec, exec, s[22:23]
	s_cbranch_execnz .LBB7_94
.LBB7_95:                               ;   in Loop: Header=BB7_28 Depth=1
	s_or_b64 exec, exec, s[20:21]
	global_load_dwordx2 v[0:1], v29, s[6:7] offset:16
	s_mov_b64 s[22:23], exec
	v_mbcnt_lo_u32_b32 v2, s22, 0
	v_mbcnt_hi_u32_b32 v2, s23, v2
	v_cmp_eq_u32_e32 vcc, 0, v2
	s_and_saveexec_b64 s[20:21], vcc
	s_cbranch_execz .LBB7_97
; %bb.96:                               ;   in Loop: Header=BB7_28 Depth=1
	s_bcnt1_i32_b64 s22, s[22:23]
	v_mov_b32_e32 v28, s22
	buffer_wbl2
	s_waitcnt vmcnt(0)
	global_atomic_add_x2 v[0:1], v[28:29], off offset:8
.LBB7_97:                               ;   in Loop: Header=BB7_28 Depth=1
	s_or_b64 exec, exec, s[20:21]
	s_waitcnt vmcnt(0)
	global_load_dwordx2 v[2:3], v[0:1], off offset:16
	s_waitcnt vmcnt(0)
	v_cmp_eq_u64_e32 vcc, 0, v[2:3]
	s_cbranch_vccnz .LBB7_99
; %bb.98:                               ;   in Loop: Header=BB7_28 Depth=1
	global_load_dword v28, v[0:1], off offset:24
	s_waitcnt vmcnt(0)
	v_and_b32_e32 v0, 0xffffff, v28
	v_readfirstlane_b32 m0, v0
	buffer_wbl2
	global_store_dwordx2 v[2:3], v[28:29], off
	s_sendmsg sendmsg(MSG_INTERRUPT)
.LBB7_99:                               ;   in Loop: Header=BB7_28 Depth=1
	s_or_b64 exec, exec, s[18:19]
	v_add_co_u32_e32 v0, vcc, v6, v34
	v_addc_co_u32_e32 v1, vcc, 0, v7, vcc
	s_branch .LBB7_103
.LBB7_100:                              ;   in Loop: Header=BB7_103 Depth=2
	s_or_b64 exec, exec, s[18:19]
	v_readfirstlane_b32 s18, v2
	s_cmp_eq_u32 s18, 0
	s_cbranch_scc1 .LBB7_102
; %bb.101:                              ;   in Loop: Header=BB7_103 Depth=2
	s_sleep 1
	s_cbranch_execnz .LBB7_103
	s_branch .LBB7_105
.LBB7_102:                              ;   in Loop: Header=BB7_28 Depth=1
	s_branch .LBB7_105
.LBB7_103:                              ;   Parent Loop BB7_28 Depth=1
                                        ; =>  This Inner Loop Header: Depth=2
	v_mov_b32_e32 v2, 1
	s_and_saveexec_b64 s[18:19], s[4:5]
	s_cbranch_execz .LBB7_100
; %bb.104:                              ;   in Loop: Header=BB7_103 Depth=2
	global_load_dword v2, v[30:31], off offset:20 glc
	s_waitcnt vmcnt(0)
	buffer_invl2
	buffer_wbinvl1_vol
	v_and_b32_e32 v2, 1, v2
	s_branch .LBB7_100
.LBB7_105:                              ;   in Loop: Header=BB7_28 Depth=1
	global_load_dwordx4 v[0:3], v[0:1], off
	s_and_saveexec_b64 s[18:19], s[4:5]
	s_cbranch_execz .LBB7_27
; %bb.106:                              ;   in Loop: Header=BB7_28 Depth=1
	global_load_dwordx2 v[2:3], v29, s[6:7] offset:40
	global_load_dwordx2 v[6:7], v29, s[6:7] offset:24 glc
	global_load_dwordx2 v[14:15], v29, s[6:7]
	v_mov_b32_e32 v11, s17
	s_waitcnt vmcnt(2)
	v_add_co_u32_e32 v13, vcc, 1, v2
	v_addc_co_u32_e32 v16, vcc, 0, v3, vcc
	v_add_co_u32_e32 v10, vcc, s16, v13
	v_addc_co_u32_e32 v11, vcc, v16, v11, vcc
	v_cmp_eq_u64_e32 vcc, 0, v[10:11]
	v_cndmask_b32_e32 v11, v11, v16, vcc
	v_cndmask_b32_e32 v10, v10, v13, vcc
	v_and_b32_e32 v3, v11, v3
	v_and_b32_e32 v2, v10, v2
	v_mul_lo_u32 v3, v3, 24
	v_mul_hi_u32 v13, v2, 24
	v_mul_lo_u32 v2, v2, 24
	v_add_u32_e32 v3, v13, v3
	s_waitcnt vmcnt(0)
	v_add_co_u32_e32 v2, vcc, v14, v2
	v_addc_co_u32_e32 v3, vcc, v15, v3, vcc
	v_mov_b32_e32 v12, v6
	global_store_dwordx2 v[2:3], v[6:7], off
	v_mov_b32_e32 v13, v7
	buffer_wbl2
	s_waitcnt vmcnt(0)
	global_atomic_cmpswap_x2 v[12:13], v29, v[10:13], s[6:7] offset:24 glc
	s_waitcnt vmcnt(0)
	v_cmp_ne_u64_e32 vcc, v[12:13], v[6:7]
	s_and_b64 exec, exec, vcc
	s_cbranch_execz .LBB7_27
; %bb.107:                              ;   in Loop: Header=BB7_28 Depth=1
	s_mov_b64 s[4:5], 0
.LBB7_108:                              ;   Parent Loop BB7_28 Depth=1
                                        ; =>  This Inner Loop Header: Depth=2
	s_sleep 1
	global_store_dwordx2 v[2:3], v[12:13], off
	buffer_wbl2
	s_waitcnt vmcnt(0)
	global_atomic_cmpswap_x2 v[6:7], v29, v[10:13], s[6:7] offset:24 glc
	s_waitcnt vmcnt(0)
	v_cmp_eq_u64_e32 vcc, v[6:7], v[12:13]
	s_or_b64 s[4:5], vcc, s[4:5]
	v_pk_mov_b32 v[12:13], v[6:7], v[6:7] op_sel:[0,1]
	s_andn2_b64 exec, exec, s[4:5]
	s_cbranch_execnz .LBB7_108
	s_branch .LBB7_27
.LBB7_109:
                                        ; implicit-def: $vgpr0_vgpr1
	s_cbranch_execnz .LBB7_111
	s_branch .LBB7_137
.LBB7_110:
	s_branch .LBB7_137
.LBB7_111:
	v_readfirstlane_b32 s4, v35
	v_cmp_eq_u32_e64 s[4:5], s4, v35
	v_pk_mov_b32 v[8:9], 0, 0
	s_and_saveexec_b64 s[10:11], s[4:5]
	s_cbranch_execz .LBB7_117
; %bb.112:
	s_waitcnt vmcnt(0)
	v_mov_b32_e32 v0, 0
	global_load_dwordx2 v[10:11], v0, s[6:7] offset:24 glc
	s_waitcnt vmcnt(0)
	buffer_invl2
	buffer_wbinvl1_vol
	global_load_dwordx2 v[2:3], v0, s[6:7] offset:40
	global_load_dwordx2 v[6:7], v0, s[6:7]
	s_waitcnt vmcnt(1)
	v_and_b32_e32 v1, v2, v10
	v_and_b32_e32 v2, v3, v11
	v_mul_lo_u32 v2, v2, 24
	v_mul_hi_u32 v3, v1, 24
	v_mul_lo_u32 v1, v1, 24
	v_add_u32_e32 v3, v3, v2
	s_waitcnt vmcnt(0)
	v_add_co_u32_e32 v2, vcc, v6, v1
	v_addc_co_u32_e32 v3, vcc, v7, v3, vcc
	global_load_dwordx2 v[8:9], v[2:3], off glc
	s_waitcnt vmcnt(0)
	global_atomic_cmpswap_x2 v[8:9], v0, v[8:11], s[6:7] offset:24 glc
	s_waitcnt vmcnt(0)
	buffer_invl2
	buffer_wbinvl1_vol
	v_cmp_ne_u64_e32 vcc, v[8:9], v[10:11]
	s_and_saveexec_b64 s[12:13], vcc
	s_cbranch_execz .LBB7_116
; %bb.113:
	s_mov_b64 s[14:15], 0
.LBB7_114:                              ; =>This Inner Loop Header: Depth=1
	s_sleep 1
	global_load_dwordx2 v[2:3], v0, s[6:7] offset:40
	global_load_dwordx2 v[6:7], v0, s[6:7]
	v_pk_mov_b32 v[10:11], v[8:9], v[8:9] op_sel:[0,1]
	s_waitcnt vmcnt(1)
	v_and_b32_e32 v2, v2, v10
	v_and_b32_e32 v1, v3, v11
	s_waitcnt vmcnt(0)
	v_mad_u64_u32 v[2:3], s[16:17], v2, 24, v[6:7]
	v_mov_b32_e32 v6, v3
	v_mad_u64_u32 v[6:7], s[16:17], v1, 24, v[6:7]
	v_mov_b32_e32 v3, v6
	global_load_dwordx2 v[8:9], v[2:3], off glc
	s_waitcnt vmcnt(0)
	global_atomic_cmpswap_x2 v[8:9], v0, v[8:11], s[6:7] offset:24 glc
	s_waitcnt vmcnt(0)
	buffer_invl2
	buffer_wbinvl1_vol
	v_cmp_eq_u64_e32 vcc, v[8:9], v[10:11]
	s_or_b64 s[14:15], vcc, s[14:15]
	s_andn2_b64 exec, exec, s[14:15]
	s_cbranch_execnz .LBB7_114
; %bb.115:
	s_or_b64 exec, exec, s[14:15]
.LBB7_116:
	s_or_b64 exec, exec, s[12:13]
.LBB7_117:
	s_or_b64 exec, exec, s[10:11]
	v_mov_b32_e32 v6, 0
	global_load_dwordx2 v[10:11], v6, s[6:7] offset:40
	global_load_dwordx4 v[0:3], v6, s[6:7]
	v_readfirstlane_b32 s10, v8
	v_readfirstlane_b32 s11, v9
	s_mov_b64 s[12:13], exec
	s_waitcnt vmcnt(1)
	v_readfirstlane_b32 s14, v10
	v_readfirstlane_b32 s15, v11
	s_and_b64 s[14:15], s[10:11], s[14:15]
	s_mul_i32 s16, s15, 24
	s_mul_hi_u32 s17, s14, 24
	s_mul_i32 s18, s14, 24
	s_add_i32 s16, s17, s16
	v_mov_b32_e32 v7, s16
	s_waitcnt vmcnt(0)
	v_add_co_u32_e32 v8, vcc, s18, v0
	v_addc_co_u32_e32 v9, vcc, v1, v7, vcc
	s_and_saveexec_b64 s[16:17], s[4:5]
	s_cbranch_execz .LBB7_119
; %bb.118:
	v_pk_mov_b32 v[10:11], s[12:13], s[12:13] op_sel:[0,1]
	v_mov_b32_e32 v12, 2
	v_mov_b32_e32 v13, 1
	global_store_dwordx4 v[8:9], v[10:13], off offset:8
.LBB7_119:
	s_or_b64 exec, exec, s[16:17]
	s_lshl_b64 s[12:13], s[14:15], 12
	v_mov_b32_e32 v7, s13
	v_add_co_u32_e32 v2, vcc, s12, v2
	s_movk_i32 s12, 0xff1f
	v_addc_co_u32_e32 v3, vcc, v3, v7, vcc
	v_and_or_b32 v4, v4, s12, 32
	s_mov_b32 s12, 0
	v_add_co_u32_e32 v10, vcc, v2, v34
	v_mov_b32_e32 v7, v6
	v_readfirstlane_b32 s16, v2
	v_readfirstlane_b32 s17, v3
	s_mov_b32 s13, s12
	v_addc_co_u32_e32 v11, vcc, 0, v3, vcc
	s_mov_b32 s14, s12
	s_mov_b32 s15, s12
	s_nop 0
	global_store_dwordx4 v34, v[4:7], s[16:17]
	v_pk_mov_b32 v[2:3], s[12:13], s[12:13] op_sel:[0,1]
	v_pk_mov_b32 v[4:5], s[14:15], s[14:15] op_sel:[0,1]
	global_store_dwordx4 v34, v[2:5], s[16:17] offset:16
	global_store_dwordx4 v34, v[2:5], s[16:17] offset:32
	;; [unrolled: 1-line block ×3, first 2 shown]
	s_and_saveexec_b64 s[12:13], s[4:5]
	s_cbranch_execz .LBB7_127
; %bb.120:
	v_mov_b32_e32 v6, 0
	global_load_dwordx2 v[14:15], v6, s[6:7] offset:32 glc
	global_load_dwordx2 v[2:3], v6, s[6:7] offset:40
	v_mov_b32_e32 v12, s10
	v_mov_b32_e32 v13, s11
	s_waitcnt vmcnt(0)
	v_readfirstlane_b32 s14, v2
	v_readfirstlane_b32 s15, v3
	s_and_b64 s[14:15], s[14:15], s[10:11]
	s_mul_i32 s15, s15, 24
	s_mul_hi_u32 s16, s14, 24
	s_mul_i32 s14, s14, 24
	s_add_i32 s15, s16, s15
	v_mov_b32_e32 v2, s15
	v_add_co_u32_e32 v4, vcc, s14, v0
	v_addc_co_u32_e32 v5, vcc, v1, v2, vcc
	global_store_dwordx2 v[4:5], v[14:15], off
	buffer_wbl2
	s_waitcnt vmcnt(0)
	global_atomic_cmpswap_x2 v[2:3], v6, v[12:15], s[6:7] offset:32 glc
	s_waitcnt vmcnt(0)
	v_cmp_ne_u64_e32 vcc, v[2:3], v[14:15]
	s_and_saveexec_b64 s[14:15], vcc
	s_cbranch_execz .LBB7_123
; %bb.121:
	s_mov_b64 s[16:17], 0
.LBB7_122:                              ; =>This Inner Loop Header: Depth=1
	s_sleep 1
	global_store_dwordx2 v[4:5], v[2:3], off
	v_mov_b32_e32 v0, s10
	v_mov_b32_e32 v1, s11
	buffer_wbl2
	s_waitcnt vmcnt(0)
	global_atomic_cmpswap_x2 v[0:1], v6, v[0:3], s[6:7] offset:32 glc
	s_waitcnt vmcnt(0)
	v_cmp_eq_u64_e32 vcc, v[0:1], v[2:3]
	s_or_b64 s[16:17], vcc, s[16:17]
	v_pk_mov_b32 v[2:3], v[0:1], v[0:1] op_sel:[0,1]
	s_andn2_b64 exec, exec, s[16:17]
	s_cbranch_execnz .LBB7_122
.LBB7_123:
	s_or_b64 exec, exec, s[14:15]
	v_mov_b32_e32 v3, 0
	global_load_dwordx2 v[0:1], v3, s[6:7] offset:16
	s_mov_b64 s[14:15], exec
	v_mbcnt_lo_u32_b32 v2, s14, 0
	v_mbcnt_hi_u32_b32 v2, s15, v2
	v_cmp_eq_u32_e32 vcc, 0, v2
	s_and_saveexec_b64 s[16:17], vcc
	s_cbranch_execz .LBB7_125
; %bb.124:
	s_bcnt1_i32_b64 s14, s[14:15]
	v_mov_b32_e32 v2, s14
	buffer_wbl2
	s_waitcnt vmcnt(0)
	global_atomic_add_x2 v[0:1], v[2:3], off offset:8
.LBB7_125:
	s_or_b64 exec, exec, s[16:17]
	s_waitcnt vmcnt(0)
	global_load_dwordx2 v[2:3], v[0:1], off offset:16
	s_waitcnt vmcnt(0)
	v_cmp_eq_u64_e32 vcc, 0, v[2:3]
	s_cbranch_vccnz .LBB7_127
; %bb.126:
	global_load_dword v0, v[0:1], off offset:24
	v_mov_b32_e32 v1, 0
	buffer_wbl2
	s_waitcnt vmcnt(0)
	global_store_dwordx2 v[2:3], v[0:1], off
	v_and_b32_e32 v0, 0xffffff, v0
	v_readfirstlane_b32 m0, v0
	s_sendmsg sendmsg(MSG_INTERRUPT)
.LBB7_127:
	s_or_b64 exec, exec, s[12:13]
	s_branch .LBB7_131
.LBB7_128:                              ;   in Loop: Header=BB7_131 Depth=1
	s_or_b64 exec, exec, s[12:13]
	v_readfirstlane_b32 s12, v0
	s_cmp_eq_u32 s12, 0
	s_cbranch_scc1 .LBB7_130
; %bb.129:                              ;   in Loop: Header=BB7_131 Depth=1
	s_sleep 1
	s_cbranch_execnz .LBB7_131
	s_branch .LBB7_133
.LBB7_130:
	s_branch .LBB7_133
.LBB7_131:                              ; =>This Inner Loop Header: Depth=1
	v_mov_b32_e32 v0, 1
	s_and_saveexec_b64 s[12:13], s[4:5]
	s_cbranch_execz .LBB7_128
; %bb.132:                              ;   in Loop: Header=BB7_131 Depth=1
	global_load_dword v0, v[8:9], off offset:20 glc
	s_waitcnt vmcnt(0)
	buffer_invl2
	buffer_wbinvl1_vol
	v_and_b32_e32 v0, 1, v0
	s_branch .LBB7_128
.LBB7_133:
	global_load_dwordx2 v[0:1], v[10:11], off
	s_and_saveexec_b64 s[12:13], s[4:5]
	s_cbranch_execz .LBB7_136
; %bb.134:
	v_mov_b32_e32 v8, 0
	global_load_dwordx2 v[6:7], v8, s[6:7] offset:40
	global_load_dwordx2 v[10:11], v8, s[6:7] offset:24 glc
	global_load_dwordx2 v[12:13], v8, s[6:7]
	v_mov_b32_e32 v3, s11
	s_mov_b64 s[4:5], 0
	s_waitcnt vmcnt(2)
	v_add_co_u32_e32 v5, vcc, 1, v6
	v_addc_co_u32_e32 v9, vcc, 0, v7, vcc
	v_add_co_u32_e32 v2, vcc, s10, v5
	v_addc_co_u32_e32 v3, vcc, v9, v3, vcc
	v_cmp_eq_u64_e32 vcc, 0, v[2:3]
	v_cndmask_b32_e32 v3, v3, v9, vcc
	v_cndmask_b32_e32 v2, v2, v5, vcc
	v_and_b32_e32 v5, v3, v7
	v_and_b32_e32 v6, v2, v6
	v_mul_lo_u32 v5, v5, 24
	v_mul_hi_u32 v7, v6, 24
	v_mul_lo_u32 v6, v6, 24
	v_add_u32_e32 v5, v7, v5
	s_waitcnt vmcnt(0)
	v_add_co_u32_e32 v6, vcc, v12, v6
	v_addc_co_u32_e32 v7, vcc, v13, v5, vcc
	v_mov_b32_e32 v4, v10
	global_store_dwordx2 v[6:7], v[10:11], off
	v_mov_b32_e32 v5, v11
	buffer_wbl2
	s_waitcnt vmcnt(0)
	global_atomic_cmpswap_x2 v[4:5], v8, v[2:5], s[6:7] offset:24 glc
	s_waitcnt vmcnt(0)
	v_cmp_ne_u64_e32 vcc, v[4:5], v[10:11]
	s_and_b64 exec, exec, vcc
	s_cbranch_execz .LBB7_136
.LBB7_135:                              ; =>This Inner Loop Header: Depth=1
	s_sleep 1
	global_store_dwordx2 v[6:7], v[4:5], off
	buffer_wbl2
	s_waitcnt vmcnt(0)
	global_atomic_cmpswap_x2 v[10:11], v8, v[2:5], s[6:7] offset:24 glc
	s_waitcnt vmcnt(0)
	v_cmp_eq_u64_e32 vcc, v[10:11], v[4:5]
	s_or_b64 s[4:5], vcc, s[4:5]
	v_pk_mov_b32 v[4:5], v[10:11], v[10:11] op_sel:[0,1]
	s_andn2_b64 exec, exec, s[4:5]
	s_cbranch_execnz .LBB7_135
.LBB7_136:
	s_or_b64 exec, exec, s[12:13]
.LBB7_137:
	s_getpc_b64 s[10:11]
	s_add_u32 s10, s10, .str.1@rel32@lo+4
	s_addc_u32 s11, s11, .str.1@rel32@hi+12
	s_cmp_lg_u64 s[10:11], 0
	s_cselect_b64 s[4:5], -1, 0
	s_cmp_eq_u64 s[10:11], 0
	s_mov_b64 s[10:11], 0
	s_cbranch_scc1 .LBB7_141
; %bb.138:
	s_waitcnt vmcnt(0)
	v_mov_b32_e32 v2, 0
	s_getpc_b64 s[10:11]
	s_add_u32 s10, s10, .str.1@rel32@lo+3
	s_addc_u32 s11, s11, .str.1@rel32@hi+11
.LBB7_139:                              ; =>This Inner Loop Header: Depth=1
	global_load_ubyte v3, v2, s[10:11] offset:1
	s_add_u32 s12, s10, 1
	s_addc_u32 s13, s11, 0
	s_mov_b64 s[10:11], s[12:13]
	s_waitcnt vmcnt(0)
	v_cmp_ne_u16_e32 vcc, 0, v3
	s_cbranch_vccnz .LBB7_139
; %bb.140:
	s_getpc_b64 s[10:11]
	s_add_u32 s10, s10, .str.1@rel32@lo+4
	s_addc_u32 s11, s11, .str.1@rel32@hi+12
	s_sub_u32 s10, s12, s10
	s_subb_u32 s11, s13, s11
	s_add_u32 s10, s10, 1
	s_addc_u32 s11, s11, 0
.LBB7_141:
	s_and_b64 vcc, exec, s[4:5]
	s_cbranch_vccz .LBB7_225
; %bb.142:
	s_waitcnt vmcnt(0)
	v_and_b32_e32 v28, 2, v0
	v_mov_b32_e32 v31, 0
	v_and_b32_e32 v2, -3, v0
	v_mov_b32_e32 v3, v1
	v_mov_b32_e32 v6, 2
	;; [unrolled: 1-line block ×3, first 2 shown]
	s_getpc_b64 s[12:13]
	s_add_u32 s12, s12, .str.1@rel32@lo+4
	s_addc_u32 s13, s13, .str.1@rel32@hi+12
	s_branch .LBB7_144
.LBB7_143:                              ;   in Loop: Header=BB7_144 Depth=1
	s_or_b64 exec, exec, s[18:19]
	s_sub_u32 s10, s10, s14
	s_subb_u32 s11, s11, s15
	s_add_u32 s12, s12, s14
	s_addc_u32 s13, s13, s15
	s_cmp_lg_u64 s[10:11], 0
	s_cbranch_scc0 .LBB7_226
.LBB7_144:                              ; =>This Loop Header: Depth=1
                                        ;     Child Loop BB7_147 Depth 2
                                        ;     Child Loop BB7_154 Depth 2
                                        ;     Child Loop BB7_162 Depth 2
                                        ;     Child Loop BB7_170 Depth 2
                                        ;     Child Loop BB7_178 Depth 2
                                        ;     Child Loop BB7_186 Depth 2
                                        ;     Child Loop BB7_194 Depth 2
                                        ;     Child Loop BB7_202 Depth 2
                                        ;     Child Loop BB7_210 Depth 2
                                        ;     Child Loop BB7_219 Depth 2
                                        ;     Child Loop BB7_224 Depth 2
	v_cmp_lt_u64_e64 s[4:5], s[10:11], 56
	s_and_b64 s[4:5], s[4:5], exec
	v_cmp_gt_u64_e64 s[4:5], s[10:11], 7
	s_cselect_b32 s15, s11, 0
	s_cselect_b32 s14, s10, 56
	s_and_b64 vcc, exec, s[4:5]
	s_cbranch_vccnz .LBB7_149
; %bb.145:                              ;   in Loop: Header=BB7_144 Depth=1
	s_mov_b64 s[4:5], 0
	s_cmp_eq_u64 s[10:11], 0
	v_pk_mov_b32 v[10:11], 0, 0
	s_cbranch_scc1 .LBB7_148
; %bb.146:                              ;   in Loop: Header=BB7_144 Depth=1
	s_lshl_b64 s[16:17], s[14:15], 3
	s_mov_b64 s[18:19], 0
	v_pk_mov_b32 v[10:11], 0, 0
	s_mov_b64 s[20:21], s[12:13]
.LBB7_147:                              ;   Parent Loop BB7_144 Depth=1
                                        ; =>  This Inner Loop Header: Depth=2
	global_load_ubyte v4, v31, s[20:21]
	s_waitcnt vmcnt(0)
	v_and_b32_e32 v30, 0xffff, v4
	v_lshlrev_b64 v[4:5], s18, v[30:31]
	s_add_u32 s18, s18, 8
	s_addc_u32 s19, s19, 0
	s_add_u32 s20, s20, 1
	s_addc_u32 s21, s21, 0
	v_or_b32_e32 v10, v4, v10
	s_cmp_lg_u32 s16, s18
	v_or_b32_e32 v11, v5, v11
	s_cbranch_scc1 .LBB7_147
.LBB7_148:                              ;   in Loop: Header=BB7_144 Depth=1
	s_mov_b32 s20, 0
	s_andn2_b64 vcc, exec, s[4:5]
	s_mov_b64 s[4:5], s[12:13]
	s_cbranch_vccz .LBB7_150
	s_branch .LBB7_151
.LBB7_149:                              ;   in Loop: Header=BB7_144 Depth=1
                                        ; implicit-def: $vgpr10_vgpr11
                                        ; implicit-def: $sgpr20
	s_mov_b64 s[4:5], s[12:13]
.LBB7_150:                              ;   in Loop: Header=BB7_144 Depth=1
	global_load_dwordx2 v[10:11], v31, s[12:13]
	s_add_i32 s20, s14, -8
	s_add_u32 s4, s12, 8
	s_addc_u32 s5, s13, 0
.LBB7_151:                              ;   in Loop: Header=BB7_144 Depth=1
	s_cmp_gt_u32 s20, 7
	s_cbranch_scc1 .LBB7_155
; %bb.152:                              ;   in Loop: Header=BB7_144 Depth=1
	s_cmp_eq_u32 s20, 0
	s_cbranch_scc1 .LBB7_156
; %bb.153:                              ;   in Loop: Header=BB7_144 Depth=1
	s_mov_b64 s[16:17], 0
	v_pk_mov_b32 v[12:13], 0, 0
	s_mov_b64 s[18:19], 0
.LBB7_154:                              ;   Parent Loop BB7_144 Depth=1
                                        ; =>  This Inner Loop Header: Depth=2
	s_add_u32 s22, s4, s18
	s_addc_u32 s23, s5, s19
	global_load_ubyte v4, v31, s[22:23]
	s_add_u32 s18, s18, 1
	s_addc_u32 s19, s19, 0
	s_waitcnt vmcnt(0)
	v_and_b32_e32 v30, 0xffff, v4
	v_lshlrev_b64 v[4:5], s16, v[30:31]
	s_add_u32 s16, s16, 8
	s_addc_u32 s17, s17, 0
	v_or_b32_e32 v12, v4, v12
	s_cmp_lg_u32 s20, s18
	v_or_b32_e32 v13, v5, v13
	s_cbranch_scc1 .LBB7_154
	s_branch .LBB7_157
.LBB7_155:                              ;   in Loop: Header=BB7_144 Depth=1
                                        ; implicit-def: $vgpr12_vgpr13
                                        ; implicit-def: $sgpr21
	s_branch .LBB7_158
.LBB7_156:                              ;   in Loop: Header=BB7_144 Depth=1
	v_pk_mov_b32 v[12:13], 0, 0
.LBB7_157:                              ;   in Loop: Header=BB7_144 Depth=1
	s_mov_b32 s21, 0
	s_cbranch_execnz .LBB7_159
.LBB7_158:                              ;   in Loop: Header=BB7_144 Depth=1
	global_load_dwordx2 v[12:13], v31, s[4:5]
	s_add_i32 s21, s20, -8
	s_add_u32 s4, s4, 8
	s_addc_u32 s5, s5, 0
.LBB7_159:                              ;   in Loop: Header=BB7_144 Depth=1
	s_cmp_gt_u32 s21, 7
	s_cbranch_scc1 .LBB7_163
; %bb.160:                              ;   in Loop: Header=BB7_144 Depth=1
	s_cmp_eq_u32 s21, 0
	s_cbranch_scc1 .LBB7_164
; %bb.161:                              ;   in Loop: Header=BB7_144 Depth=1
	s_mov_b64 s[16:17], 0
	v_pk_mov_b32 v[14:15], 0, 0
	s_mov_b64 s[18:19], 0
.LBB7_162:                              ;   Parent Loop BB7_144 Depth=1
                                        ; =>  This Inner Loop Header: Depth=2
	s_add_u32 s22, s4, s18
	s_addc_u32 s23, s5, s19
	global_load_ubyte v4, v31, s[22:23]
	s_add_u32 s18, s18, 1
	s_addc_u32 s19, s19, 0
	s_waitcnt vmcnt(0)
	v_and_b32_e32 v30, 0xffff, v4
	v_lshlrev_b64 v[4:5], s16, v[30:31]
	s_add_u32 s16, s16, 8
	s_addc_u32 s17, s17, 0
	v_or_b32_e32 v14, v4, v14
	s_cmp_lg_u32 s21, s18
	v_or_b32_e32 v15, v5, v15
	s_cbranch_scc1 .LBB7_162
	s_branch .LBB7_165
.LBB7_163:                              ;   in Loop: Header=BB7_144 Depth=1
                                        ; implicit-def: $sgpr20
	s_branch .LBB7_166
.LBB7_164:                              ;   in Loop: Header=BB7_144 Depth=1
	v_pk_mov_b32 v[14:15], 0, 0
.LBB7_165:                              ;   in Loop: Header=BB7_144 Depth=1
	s_mov_b32 s20, 0
	s_cbranch_execnz .LBB7_167
.LBB7_166:                              ;   in Loop: Header=BB7_144 Depth=1
	global_load_dwordx2 v[14:15], v31, s[4:5]
	s_add_i32 s20, s21, -8
	s_add_u32 s4, s4, 8
	s_addc_u32 s5, s5, 0
.LBB7_167:                              ;   in Loop: Header=BB7_144 Depth=1
	s_cmp_gt_u32 s20, 7
	s_cbranch_scc1 .LBB7_171
; %bb.168:                              ;   in Loop: Header=BB7_144 Depth=1
	s_cmp_eq_u32 s20, 0
	s_cbranch_scc1 .LBB7_172
; %bb.169:                              ;   in Loop: Header=BB7_144 Depth=1
	s_mov_b64 s[16:17], 0
	v_pk_mov_b32 v[16:17], 0, 0
	s_mov_b64 s[18:19], 0
.LBB7_170:                              ;   Parent Loop BB7_144 Depth=1
                                        ; =>  This Inner Loop Header: Depth=2
	s_add_u32 s22, s4, s18
	s_addc_u32 s23, s5, s19
	global_load_ubyte v4, v31, s[22:23]
	s_add_u32 s18, s18, 1
	s_addc_u32 s19, s19, 0
	s_waitcnt vmcnt(0)
	v_and_b32_e32 v30, 0xffff, v4
	v_lshlrev_b64 v[4:5], s16, v[30:31]
	s_add_u32 s16, s16, 8
	s_addc_u32 s17, s17, 0
	v_or_b32_e32 v16, v4, v16
	s_cmp_lg_u32 s20, s18
	v_or_b32_e32 v17, v5, v17
	s_cbranch_scc1 .LBB7_170
	s_branch .LBB7_173
.LBB7_171:                              ;   in Loop: Header=BB7_144 Depth=1
                                        ; implicit-def: $vgpr16_vgpr17
                                        ; implicit-def: $sgpr21
	s_branch .LBB7_174
.LBB7_172:                              ;   in Loop: Header=BB7_144 Depth=1
	v_pk_mov_b32 v[16:17], 0, 0
.LBB7_173:                              ;   in Loop: Header=BB7_144 Depth=1
	s_mov_b32 s21, 0
	s_cbranch_execnz .LBB7_175
.LBB7_174:                              ;   in Loop: Header=BB7_144 Depth=1
	global_load_dwordx2 v[16:17], v31, s[4:5]
	s_add_i32 s21, s20, -8
	s_add_u32 s4, s4, 8
	s_addc_u32 s5, s5, 0
.LBB7_175:                              ;   in Loop: Header=BB7_144 Depth=1
	s_cmp_gt_u32 s21, 7
	s_cbranch_scc1 .LBB7_179
; %bb.176:                              ;   in Loop: Header=BB7_144 Depth=1
	s_cmp_eq_u32 s21, 0
	s_cbranch_scc1 .LBB7_180
; %bb.177:                              ;   in Loop: Header=BB7_144 Depth=1
	s_mov_b64 s[16:17], 0
	v_pk_mov_b32 v[18:19], 0, 0
	s_mov_b64 s[18:19], 0
.LBB7_178:                              ;   Parent Loop BB7_144 Depth=1
                                        ; =>  This Inner Loop Header: Depth=2
	s_add_u32 s22, s4, s18
	s_addc_u32 s23, s5, s19
	global_load_ubyte v4, v31, s[22:23]
	s_add_u32 s18, s18, 1
	s_addc_u32 s19, s19, 0
	s_waitcnt vmcnt(0)
	v_and_b32_e32 v30, 0xffff, v4
	v_lshlrev_b64 v[4:5], s16, v[30:31]
	s_add_u32 s16, s16, 8
	s_addc_u32 s17, s17, 0
	v_or_b32_e32 v18, v4, v18
	s_cmp_lg_u32 s21, s18
	v_or_b32_e32 v19, v5, v19
	s_cbranch_scc1 .LBB7_178
	s_branch .LBB7_181
.LBB7_179:                              ;   in Loop: Header=BB7_144 Depth=1
                                        ; implicit-def: $sgpr20
	s_branch .LBB7_182
.LBB7_180:                              ;   in Loop: Header=BB7_144 Depth=1
	v_pk_mov_b32 v[18:19], 0, 0
.LBB7_181:                              ;   in Loop: Header=BB7_144 Depth=1
	s_mov_b32 s20, 0
	s_cbranch_execnz .LBB7_183
.LBB7_182:                              ;   in Loop: Header=BB7_144 Depth=1
	global_load_dwordx2 v[18:19], v31, s[4:5]
	s_add_i32 s20, s21, -8
	s_add_u32 s4, s4, 8
	s_addc_u32 s5, s5, 0
.LBB7_183:                              ;   in Loop: Header=BB7_144 Depth=1
	s_cmp_gt_u32 s20, 7
	s_cbranch_scc1 .LBB7_187
; %bb.184:                              ;   in Loop: Header=BB7_144 Depth=1
	s_cmp_eq_u32 s20, 0
	s_cbranch_scc1 .LBB7_188
; %bb.185:                              ;   in Loop: Header=BB7_144 Depth=1
	s_mov_b64 s[16:17], 0
	v_pk_mov_b32 v[20:21], 0, 0
	s_mov_b64 s[18:19], 0
.LBB7_186:                              ;   Parent Loop BB7_144 Depth=1
                                        ; =>  This Inner Loop Header: Depth=2
	s_add_u32 s22, s4, s18
	s_addc_u32 s23, s5, s19
	global_load_ubyte v4, v31, s[22:23]
	s_add_u32 s18, s18, 1
	s_addc_u32 s19, s19, 0
	s_waitcnt vmcnt(0)
	v_and_b32_e32 v30, 0xffff, v4
	v_lshlrev_b64 v[4:5], s16, v[30:31]
	s_add_u32 s16, s16, 8
	s_addc_u32 s17, s17, 0
	v_or_b32_e32 v20, v4, v20
	s_cmp_lg_u32 s20, s18
	v_or_b32_e32 v21, v5, v21
	s_cbranch_scc1 .LBB7_186
	s_branch .LBB7_189
.LBB7_187:                              ;   in Loop: Header=BB7_144 Depth=1
                                        ; implicit-def: $vgpr20_vgpr21
                                        ; implicit-def: $sgpr21
	s_branch .LBB7_190
.LBB7_188:                              ;   in Loop: Header=BB7_144 Depth=1
	v_pk_mov_b32 v[20:21], 0, 0
.LBB7_189:                              ;   in Loop: Header=BB7_144 Depth=1
	s_mov_b32 s21, 0
	s_cbranch_execnz .LBB7_191
.LBB7_190:                              ;   in Loop: Header=BB7_144 Depth=1
	global_load_dwordx2 v[20:21], v31, s[4:5]
	s_add_i32 s21, s20, -8
	s_add_u32 s4, s4, 8
	s_addc_u32 s5, s5, 0
.LBB7_191:                              ;   in Loop: Header=BB7_144 Depth=1
	s_cmp_gt_u32 s21, 7
	s_cbranch_scc1 .LBB7_195
; %bb.192:                              ;   in Loop: Header=BB7_144 Depth=1
	s_cmp_eq_u32 s21, 0
	s_cbranch_scc1 .LBB7_196
; %bb.193:                              ;   in Loop: Header=BB7_144 Depth=1
	s_mov_b64 s[16:17], 0
	v_pk_mov_b32 v[22:23], 0, 0
	s_mov_b64 s[18:19], s[4:5]
.LBB7_194:                              ;   Parent Loop BB7_144 Depth=1
                                        ; =>  This Inner Loop Header: Depth=2
	global_load_ubyte v4, v31, s[18:19]
	s_add_i32 s21, s21, -1
	s_waitcnt vmcnt(0)
	v_and_b32_e32 v30, 0xffff, v4
	v_lshlrev_b64 v[4:5], s16, v[30:31]
	s_add_u32 s16, s16, 8
	s_addc_u32 s17, s17, 0
	s_add_u32 s18, s18, 1
	s_addc_u32 s19, s19, 0
	v_or_b32_e32 v22, v4, v22
	s_cmp_lg_u32 s21, 0
	v_or_b32_e32 v23, v5, v23
	s_cbranch_scc1 .LBB7_194
	s_branch .LBB7_197
.LBB7_195:                              ;   in Loop: Header=BB7_144 Depth=1
	s_branch .LBB7_198
.LBB7_196:                              ;   in Loop: Header=BB7_144 Depth=1
	v_pk_mov_b32 v[22:23], 0, 0
.LBB7_197:                              ;   in Loop: Header=BB7_144 Depth=1
	s_cbranch_execnz .LBB7_199
.LBB7_198:                              ;   in Loop: Header=BB7_144 Depth=1
	global_load_dwordx2 v[22:23], v31, s[4:5]
.LBB7_199:                              ;   in Loop: Header=BB7_144 Depth=1
	v_readfirstlane_b32 s4, v35
	v_cmp_eq_u32_e64 s[4:5], s4, v35
	s_waitcnt vmcnt(0)
	v_pk_mov_b32 v[4:5], 0, 0
	s_and_saveexec_b64 s[16:17], s[4:5]
	s_cbranch_execz .LBB7_205
; %bb.200:                              ;   in Loop: Header=BB7_144 Depth=1
	global_load_dwordx2 v[26:27], v31, s[6:7] offset:24 glc
	s_waitcnt vmcnt(0)
	buffer_invl2
	buffer_wbinvl1_vol
	global_load_dwordx2 v[4:5], v31, s[6:7] offset:40
	global_load_dwordx2 v[8:9], v31, s[6:7]
	s_waitcnt vmcnt(1)
	v_and_b32_e32 v4, v4, v26
	v_and_b32_e32 v5, v5, v27
	v_mul_lo_u32 v5, v5, 24
	v_mul_hi_u32 v24, v4, 24
	v_mul_lo_u32 v4, v4, 24
	v_add_u32_e32 v5, v24, v5
	s_waitcnt vmcnt(0)
	v_add_co_u32_e32 v4, vcc, v8, v4
	v_addc_co_u32_e32 v5, vcc, v9, v5, vcc
	global_load_dwordx2 v[24:25], v[4:5], off glc
	s_waitcnt vmcnt(0)
	global_atomic_cmpswap_x2 v[4:5], v31, v[24:27], s[6:7] offset:24 glc
	s_waitcnt vmcnt(0)
	buffer_invl2
	buffer_wbinvl1_vol
	v_cmp_ne_u64_e32 vcc, v[4:5], v[26:27]
	s_and_saveexec_b64 s[18:19], vcc
	s_cbranch_execz .LBB7_204
; %bb.201:                              ;   in Loop: Header=BB7_144 Depth=1
	s_mov_b64 s[20:21], 0
.LBB7_202:                              ;   Parent Loop BB7_144 Depth=1
                                        ; =>  This Inner Loop Header: Depth=2
	s_sleep 1
	global_load_dwordx2 v[8:9], v31, s[6:7] offset:40
	global_load_dwordx2 v[24:25], v31, s[6:7]
	v_pk_mov_b32 v[26:27], v[4:5], v[4:5] op_sel:[0,1]
	s_waitcnt vmcnt(1)
	v_and_b32_e32 v4, v8, v26
	s_waitcnt vmcnt(0)
	v_mad_u64_u32 v[4:5], s[22:23], v4, 24, v[24:25]
	v_and_b32_e32 v9, v9, v27
	v_mov_b32_e32 v8, v5
	v_mad_u64_u32 v[8:9], s[22:23], v9, 24, v[8:9]
	v_mov_b32_e32 v5, v8
	global_load_dwordx2 v[24:25], v[4:5], off glc
	s_waitcnt vmcnt(0)
	global_atomic_cmpswap_x2 v[4:5], v31, v[24:27], s[6:7] offset:24 glc
	s_waitcnt vmcnt(0)
	buffer_invl2
	buffer_wbinvl1_vol
	v_cmp_eq_u64_e32 vcc, v[4:5], v[26:27]
	s_or_b64 s[20:21], vcc, s[20:21]
	s_andn2_b64 exec, exec, s[20:21]
	s_cbranch_execnz .LBB7_202
; %bb.203:                              ;   in Loop: Header=BB7_144 Depth=1
	s_or_b64 exec, exec, s[20:21]
.LBB7_204:                              ;   in Loop: Header=BB7_144 Depth=1
	s_or_b64 exec, exec, s[18:19]
.LBB7_205:                              ;   in Loop: Header=BB7_144 Depth=1
	s_or_b64 exec, exec, s[16:17]
	global_load_dwordx2 v[8:9], v31, s[6:7] offset:40
	global_load_dwordx4 v[24:27], v31, s[6:7]
	v_readfirstlane_b32 s16, v4
	v_readfirstlane_b32 s17, v5
	s_mov_b64 s[18:19], exec
	s_waitcnt vmcnt(1)
	v_readfirstlane_b32 s20, v8
	v_readfirstlane_b32 s21, v9
	s_and_b64 s[20:21], s[16:17], s[20:21]
	s_mul_i32 s22, s21, 24
	s_mul_hi_u32 s23, s20, 24
	s_mul_i32 s24, s20, 24
	s_add_i32 s22, s23, s22
	v_mov_b32_e32 v4, s22
	s_waitcnt vmcnt(0)
	v_add_co_u32_e32 v32, vcc, s24, v24
	v_addc_co_u32_e32 v33, vcc, v25, v4, vcc
	s_and_saveexec_b64 s[22:23], s[4:5]
	s_cbranch_execz .LBB7_207
; %bb.206:                              ;   in Loop: Header=BB7_144 Depth=1
	v_pk_mov_b32 v[4:5], s[18:19], s[18:19] op_sel:[0,1]
	global_store_dwordx4 v[32:33], v[4:7], off offset:8
.LBB7_207:                              ;   in Loop: Header=BB7_144 Depth=1
	s_or_b64 exec, exec, s[22:23]
	s_lshl_b64 s[18:19], s[20:21], 12
	v_mov_b32_e32 v4, s19
	v_add_co_u32_e32 v26, vcc, s18, v26
	v_addc_co_u32_e32 v27, vcc, v27, v4, vcc
	v_or_b32_e32 v5, v2, v28
	v_cmp_gt_u64_e64 vcc, s[10:11], 56
	s_lshl_b32 s18, s14, 2
	v_cndmask_b32_e32 v2, v5, v2, vcc
	s_add_i32 s18, s18, 28
	v_or_b32_e32 v4, 0, v3
	s_and_b32 s18, s18, 0x1e0
	v_and_b32_e32 v2, 0xffffff1f, v2
	v_cndmask_b32_e32 v9, v4, v3, vcc
	v_or_b32_e32 v8, s18, v2
	v_readfirstlane_b32 s18, v26
	v_readfirstlane_b32 s19, v27
	s_nop 4
	global_store_dwordx4 v34, v[8:11], s[18:19]
	global_store_dwordx4 v34, v[12:15], s[18:19] offset:16
	global_store_dwordx4 v34, v[16:19], s[18:19] offset:32
	;; [unrolled: 1-line block ×3, first 2 shown]
	s_and_saveexec_b64 s[18:19], s[4:5]
	s_cbranch_execz .LBB7_215
; %bb.208:                              ;   in Loop: Header=BB7_144 Depth=1
	global_load_dwordx2 v[12:13], v31, s[6:7] offset:32 glc
	global_load_dwordx2 v[2:3], v31, s[6:7] offset:40
	v_mov_b32_e32 v10, s16
	v_mov_b32_e32 v11, s17
	s_waitcnt vmcnt(0)
	v_readfirstlane_b32 s20, v2
	v_readfirstlane_b32 s21, v3
	s_and_b64 s[20:21], s[20:21], s[16:17]
	s_mul_i32 s21, s21, 24
	s_mul_hi_u32 s22, s20, 24
	s_mul_i32 s20, s20, 24
	s_add_i32 s21, s22, s21
	v_mov_b32_e32 v2, s21
	v_add_co_u32_e32 v8, vcc, s20, v24
	v_addc_co_u32_e32 v9, vcc, v25, v2, vcc
	global_store_dwordx2 v[8:9], v[12:13], off
	buffer_wbl2
	s_waitcnt vmcnt(0)
	global_atomic_cmpswap_x2 v[4:5], v31, v[10:13], s[6:7] offset:32 glc
	s_waitcnt vmcnt(0)
	v_cmp_ne_u64_e32 vcc, v[4:5], v[12:13]
	s_and_saveexec_b64 s[20:21], vcc
	s_cbranch_execz .LBB7_211
; %bb.209:                              ;   in Loop: Header=BB7_144 Depth=1
	s_mov_b64 s[22:23], 0
.LBB7_210:                              ;   Parent Loop BB7_144 Depth=1
                                        ; =>  This Inner Loop Header: Depth=2
	s_sleep 1
	global_store_dwordx2 v[8:9], v[4:5], off
	v_mov_b32_e32 v2, s16
	v_mov_b32_e32 v3, s17
	buffer_wbl2
	s_waitcnt vmcnt(0)
	global_atomic_cmpswap_x2 v[2:3], v31, v[2:5], s[6:7] offset:32 glc
	s_waitcnt vmcnt(0)
	v_cmp_eq_u64_e32 vcc, v[2:3], v[4:5]
	s_or_b64 s[22:23], vcc, s[22:23]
	v_pk_mov_b32 v[4:5], v[2:3], v[2:3] op_sel:[0,1]
	s_andn2_b64 exec, exec, s[22:23]
	s_cbranch_execnz .LBB7_210
.LBB7_211:                              ;   in Loop: Header=BB7_144 Depth=1
	s_or_b64 exec, exec, s[20:21]
	global_load_dwordx2 v[2:3], v31, s[6:7] offset:16
	s_mov_b64 s[22:23], exec
	v_mbcnt_lo_u32_b32 v4, s22, 0
	v_mbcnt_hi_u32_b32 v4, s23, v4
	v_cmp_eq_u32_e32 vcc, 0, v4
	s_and_saveexec_b64 s[20:21], vcc
	s_cbranch_execz .LBB7_213
; %bb.212:                              ;   in Loop: Header=BB7_144 Depth=1
	s_bcnt1_i32_b64 s22, s[22:23]
	v_mov_b32_e32 v30, s22
	buffer_wbl2
	s_waitcnt vmcnt(0)
	global_atomic_add_x2 v[2:3], v[30:31], off offset:8
.LBB7_213:                              ;   in Loop: Header=BB7_144 Depth=1
	s_or_b64 exec, exec, s[20:21]
	s_waitcnt vmcnt(0)
	global_load_dwordx2 v[4:5], v[2:3], off offset:16
	s_waitcnt vmcnt(0)
	v_cmp_eq_u64_e32 vcc, 0, v[4:5]
	s_cbranch_vccnz .LBB7_215
; %bb.214:                              ;   in Loop: Header=BB7_144 Depth=1
	global_load_dword v30, v[2:3], off offset:24
	s_waitcnt vmcnt(0)
	v_and_b32_e32 v2, 0xffffff, v30
	v_readfirstlane_b32 m0, v2
	buffer_wbl2
	global_store_dwordx2 v[4:5], v[30:31], off
	s_sendmsg sendmsg(MSG_INTERRUPT)
.LBB7_215:                              ;   in Loop: Header=BB7_144 Depth=1
	s_or_b64 exec, exec, s[18:19]
	v_add_co_u32_e32 v2, vcc, v26, v34
	v_addc_co_u32_e32 v3, vcc, 0, v27, vcc
	s_branch .LBB7_219
.LBB7_216:                              ;   in Loop: Header=BB7_219 Depth=2
	s_or_b64 exec, exec, s[18:19]
	v_readfirstlane_b32 s18, v4
	s_cmp_eq_u32 s18, 0
	s_cbranch_scc1 .LBB7_218
; %bb.217:                              ;   in Loop: Header=BB7_219 Depth=2
	s_sleep 1
	s_cbranch_execnz .LBB7_219
	s_branch .LBB7_221
.LBB7_218:                              ;   in Loop: Header=BB7_144 Depth=1
	s_branch .LBB7_221
.LBB7_219:                              ;   Parent Loop BB7_144 Depth=1
                                        ; =>  This Inner Loop Header: Depth=2
	v_mov_b32_e32 v4, 1
	s_and_saveexec_b64 s[18:19], s[4:5]
	s_cbranch_execz .LBB7_216
; %bb.220:                              ;   in Loop: Header=BB7_219 Depth=2
	global_load_dword v4, v[32:33], off offset:20 glc
	s_waitcnt vmcnt(0)
	buffer_invl2
	buffer_wbinvl1_vol
	v_and_b32_e32 v4, 1, v4
	s_branch .LBB7_216
.LBB7_221:                              ;   in Loop: Header=BB7_144 Depth=1
	global_load_dwordx4 v[2:5], v[2:3], off
	s_and_saveexec_b64 s[18:19], s[4:5]
	s_cbranch_execz .LBB7_143
; %bb.222:                              ;   in Loop: Header=BB7_144 Depth=1
	global_load_dwordx2 v[4:5], v31, s[6:7] offset:40
	global_load_dwordx2 v[12:13], v31, s[6:7] offset:24 glc
	global_load_dwordx2 v[14:15], v31, s[6:7]
	v_mov_b32_e32 v9, s17
	s_waitcnt vmcnt(2)
	v_add_co_u32_e32 v11, vcc, 1, v4
	v_addc_co_u32_e32 v16, vcc, 0, v5, vcc
	v_add_co_u32_e32 v8, vcc, s16, v11
	v_addc_co_u32_e32 v9, vcc, v16, v9, vcc
	v_cmp_eq_u64_e32 vcc, 0, v[8:9]
	v_cndmask_b32_e32 v9, v9, v16, vcc
	v_cndmask_b32_e32 v8, v8, v11, vcc
	v_and_b32_e32 v5, v9, v5
	v_and_b32_e32 v4, v8, v4
	v_mul_lo_u32 v5, v5, 24
	v_mul_hi_u32 v11, v4, 24
	v_mul_lo_u32 v4, v4, 24
	v_add_u32_e32 v5, v11, v5
	s_waitcnt vmcnt(0)
	v_add_co_u32_e32 v4, vcc, v14, v4
	v_addc_co_u32_e32 v5, vcc, v15, v5, vcc
	v_mov_b32_e32 v10, v12
	global_store_dwordx2 v[4:5], v[12:13], off
	v_mov_b32_e32 v11, v13
	buffer_wbl2
	s_waitcnt vmcnt(0)
	global_atomic_cmpswap_x2 v[10:11], v31, v[8:11], s[6:7] offset:24 glc
	s_waitcnt vmcnt(0)
	v_cmp_ne_u64_e32 vcc, v[10:11], v[12:13]
	s_and_b64 exec, exec, vcc
	s_cbranch_execz .LBB7_143
; %bb.223:                              ;   in Loop: Header=BB7_144 Depth=1
	s_mov_b64 s[4:5], 0
.LBB7_224:                              ;   Parent Loop BB7_144 Depth=1
                                        ; =>  This Inner Loop Header: Depth=2
	s_sleep 1
	global_store_dwordx2 v[4:5], v[10:11], off
	buffer_wbl2
	s_waitcnt vmcnt(0)
	global_atomic_cmpswap_x2 v[12:13], v31, v[8:11], s[6:7] offset:24 glc
	s_waitcnt vmcnt(0)
	v_cmp_eq_u64_e32 vcc, v[12:13], v[10:11]
	s_or_b64 s[4:5], vcc, s[4:5]
	v_pk_mov_b32 v[10:11], v[12:13], v[12:13] op_sel:[0,1]
	s_andn2_b64 exec, exec, s[4:5]
	s_cbranch_execnz .LBB7_224
	s_branch .LBB7_143
.LBB7_225:
                                        ; implicit-def: $vgpr2_vgpr3
	s_cbranch_execnz .LBB7_227
	s_branch .LBB7_253
.LBB7_226:
	s_branch .LBB7_253
.LBB7_227:
	v_readfirstlane_b32 s4, v35
	v_cmp_eq_u32_e64 s[4:5], s4, v35
	v_pk_mov_b32 v[8:9], 0, 0
	s_and_saveexec_b64 s[10:11], s[4:5]
	s_cbranch_execz .LBB7_233
; %bb.228:
	s_waitcnt vmcnt(0)
	v_mov_b32_e32 v2, 0
	global_load_dwordx2 v[6:7], v2, s[6:7] offset:24 glc
	s_waitcnt vmcnt(0)
	buffer_invl2
	buffer_wbinvl1_vol
	global_load_dwordx2 v[4:5], v2, s[6:7] offset:40
	global_load_dwordx2 v[8:9], v2, s[6:7]
	s_waitcnt vmcnt(1)
	v_and_b32_e32 v3, v4, v6
	v_and_b32_e32 v4, v5, v7
	v_mul_lo_u32 v4, v4, 24
	v_mul_hi_u32 v5, v3, 24
	v_mul_lo_u32 v3, v3, 24
	v_add_u32_e32 v5, v5, v4
	s_waitcnt vmcnt(0)
	v_add_co_u32_e32 v4, vcc, v8, v3
	v_addc_co_u32_e32 v5, vcc, v9, v5, vcc
	global_load_dwordx2 v[4:5], v[4:5], off glc
	s_waitcnt vmcnt(0)
	global_atomic_cmpswap_x2 v[8:9], v2, v[4:7], s[6:7] offset:24 glc
	s_waitcnt vmcnt(0)
	buffer_invl2
	buffer_wbinvl1_vol
	v_cmp_ne_u64_e32 vcc, v[8:9], v[6:7]
	s_and_saveexec_b64 s[12:13], vcc
	s_cbranch_execz .LBB7_232
; %bb.229:
	s_mov_b64 s[14:15], 0
.LBB7_230:                              ; =>This Inner Loop Header: Depth=1
	s_sleep 1
	global_load_dwordx2 v[4:5], v2, s[6:7] offset:40
	global_load_dwordx2 v[10:11], v2, s[6:7]
	v_pk_mov_b32 v[6:7], v[8:9], v[8:9] op_sel:[0,1]
	s_waitcnt vmcnt(1)
	v_and_b32_e32 v4, v4, v6
	v_and_b32_e32 v3, v5, v7
	s_waitcnt vmcnt(0)
	v_mad_u64_u32 v[4:5], s[16:17], v4, 24, v[10:11]
	v_mov_b32_e32 v8, v5
	v_mad_u64_u32 v[8:9], s[16:17], v3, 24, v[8:9]
	v_mov_b32_e32 v5, v8
	global_load_dwordx2 v[4:5], v[4:5], off glc
	s_waitcnt vmcnt(0)
	global_atomic_cmpswap_x2 v[8:9], v2, v[4:7], s[6:7] offset:24 glc
	s_waitcnt vmcnt(0)
	buffer_invl2
	buffer_wbinvl1_vol
	v_cmp_eq_u64_e32 vcc, v[8:9], v[6:7]
	s_or_b64 s[14:15], vcc, s[14:15]
	s_andn2_b64 exec, exec, s[14:15]
	s_cbranch_execnz .LBB7_230
; %bb.231:
	s_or_b64 exec, exec, s[14:15]
.LBB7_232:
	s_or_b64 exec, exec, s[12:13]
.LBB7_233:
	s_or_b64 exec, exec, s[10:11]
	s_waitcnt vmcnt(0)
	v_mov_b32_e32 v2, 0
	global_load_dwordx2 v[10:11], v2, s[6:7] offset:40
	global_load_dwordx4 v[4:7], v2, s[6:7]
	v_readfirstlane_b32 s10, v8
	v_readfirstlane_b32 s11, v9
	s_mov_b64 s[12:13], exec
	s_waitcnt vmcnt(1)
	v_readfirstlane_b32 s14, v10
	v_readfirstlane_b32 s15, v11
	s_and_b64 s[14:15], s[10:11], s[14:15]
	s_mul_i32 s16, s15, 24
	s_mul_hi_u32 s17, s14, 24
	s_mul_i32 s18, s14, 24
	s_add_i32 s16, s17, s16
	v_mov_b32_e32 v3, s16
	s_waitcnt vmcnt(0)
	v_add_co_u32_e32 v8, vcc, s18, v4
	v_addc_co_u32_e32 v9, vcc, v5, v3, vcc
	s_and_saveexec_b64 s[16:17], s[4:5]
	s_cbranch_execz .LBB7_235
; %bb.234:
	v_pk_mov_b32 v[10:11], s[12:13], s[12:13] op_sel:[0,1]
	v_mov_b32_e32 v12, 2
	v_mov_b32_e32 v13, 1
	global_store_dwordx4 v[8:9], v[10:13], off offset:8
.LBB7_235:
	s_or_b64 exec, exec, s[16:17]
	s_lshl_b64 s[12:13], s[14:15], 12
	v_mov_b32_e32 v3, s13
	v_add_co_u32_e32 v10, vcc, s12, v6
	s_movk_i32 s12, 0xff1f
	v_addc_co_u32_e32 v11, vcc, v7, v3, vcc
	v_and_or_b32 v0, v0, s12, 32
	s_mov_b32 s12, 0
	v_mov_b32_e32 v3, v2
	v_readfirstlane_b32 s16, v10
	v_readfirstlane_b32 s17, v11
	s_mov_b32 s13, s12
	v_add_co_u32_e32 v6, vcc, v10, v34
	s_mov_b32 s14, s12
	s_mov_b32 s15, s12
	s_nop 0
	global_store_dwordx4 v34, v[0:3], s[16:17]
	v_addc_co_u32_e32 v7, vcc, 0, v11, vcc
	v_pk_mov_b32 v[0:1], s[12:13], s[12:13] op_sel:[0,1]
	v_pk_mov_b32 v[2:3], s[14:15], s[14:15] op_sel:[0,1]
	global_store_dwordx4 v34, v[0:3], s[16:17] offset:16
	global_store_dwordx4 v34, v[0:3], s[16:17] offset:32
	global_store_dwordx4 v34, v[0:3], s[16:17] offset:48
	s_and_saveexec_b64 s[12:13], s[4:5]
	s_cbranch_execz .LBB7_243
; %bb.236:
	v_mov_b32_e32 v10, 0
	global_load_dwordx2 v[14:15], v10, s[6:7] offset:32 glc
	global_load_dwordx2 v[0:1], v10, s[6:7] offset:40
	v_mov_b32_e32 v12, s10
	v_mov_b32_e32 v13, s11
	s_waitcnt vmcnt(0)
	v_readfirstlane_b32 s14, v0
	v_readfirstlane_b32 s15, v1
	s_and_b64 s[14:15], s[14:15], s[10:11]
	s_mul_i32 s15, s15, 24
	s_mul_hi_u32 s16, s14, 24
	s_mul_i32 s14, s14, 24
	s_add_i32 s15, s16, s15
	v_mov_b32_e32 v0, s15
	v_add_co_u32_e32 v4, vcc, s14, v4
	v_addc_co_u32_e32 v5, vcc, v5, v0, vcc
	global_store_dwordx2 v[4:5], v[14:15], off
	buffer_wbl2
	s_waitcnt vmcnt(0)
	global_atomic_cmpswap_x2 v[2:3], v10, v[12:15], s[6:7] offset:32 glc
	s_waitcnt vmcnt(0)
	v_cmp_ne_u64_e32 vcc, v[2:3], v[14:15]
	s_and_saveexec_b64 s[14:15], vcc
	s_cbranch_execz .LBB7_239
; %bb.237:
	s_mov_b64 s[16:17], 0
.LBB7_238:                              ; =>This Inner Loop Header: Depth=1
	s_sleep 1
	global_store_dwordx2 v[4:5], v[2:3], off
	v_mov_b32_e32 v0, s10
	v_mov_b32_e32 v1, s11
	buffer_wbl2
	s_waitcnt vmcnt(0)
	global_atomic_cmpswap_x2 v[0:1], v10, v[0:3], s[6:7] offset:32 glc
	s_waitcnt vmcnt(0)
	v_cmp_eq_u64_e32 vcc, v[0:1], v[2:3]
	s_or_b64 s[16:17], vcc, s[16:17]
	v_pk_mov_b32 v[2:3], v[0:1], v[0:1] op_sel:[0,1]
	s_andn2_b64 exec, exec, s[16:17]
	s_cbranch_execnz .LBB7_238
.LBB7_239:
	s_or_b64 exec, exec, s[14:15]
	v_mov_b32_e32 v3, 0
	global_load_dwordx2 v[0:1], v3, s[6:7] offset:16
	s_mov_b64 s[14:15], exec
	v_mbcnt_lo_u32_b32 v2, s14, 0
	v_mbcnt_hi_u32_b32 v2, s15, v2
	v_cmp_eq_u32_e32 vcc, 0, v2
	s_and_saveexec_b64 s[16:17], vcc
	s_cbranch_execz .LBB7_241
; %bb.240:
	s_bcnt1_i32_b64 s14, s[14:15]
	v_mov_b32_e32 v2, s14
	buffer_wbl2
	s_waitcnt vmcnt(0)
	global_atomic_add_x2 v[0:1], v[2:3], off offset:8
.LBB7_241:
	s_or_b64 exec, exec, s[16:17]
	s_waitcnt vmcnt(0)
	global_load_dwordx2 v[2:3], v[0:1], off offset:16
	s_waitcnt vmcnt(0)
	v_cmp_eq_u64_e32 vcc, 0, v[2:3]
	s_cbranch_vccnz .LBB7_243
; %bb.242:
	global_load_dword v0, v[0:1], off offset:24
	v_mov_b32_e32 v1, 0
	buffer_wbl2
	s_waitcnt vmcnt(0)
	global_store_dwordx2 v[2:3], v[0:1], off
	v_and_b32_e32 v0, 0xffffff, v0
	v_readfirstlane_b32 m0, v0
	s_sendmsg sendmsg(MSG_INTERRUPT)
.LBB7_243:
	s_or_b64 exec, exec, s[12:13]
	s_branch .LBB7_247
.LBB7_244:                              ;   in Loop: Header=BB7_247 Depth=1
	s_or_b64 exec, exec, s[12:13]
	v_readfirstlane_b32 s12, v0
	s_cmp_eq_u32 s12, 0
	s_cbranch_scc1 .LBB7_246
; %bb.245:                              ;   in Loop: Header=BB7_247 Depth=1
	s_sleep 1
	s_cbranch_execnz .LBB7_247
	s_branch .LBB7_249
.LBB7_246:
	s_branch .LBB7_249
.LBB7_247:                              ; =>This Inner Loop Header: Depth=1
	v_mov_b32_e32 v0, 1
	s_and_saveexec_b64 s[12:13], s[4:5]
	s_cbranch_execz .LBB7_244
; %bb.248:                              ;   in Loop: Header=BB7_247 Depth=1
	global_load_dword v0, v[8:9], off offset:20 glc
	s_waitcnt vmcnt(0)
	buffer_invl2
	buffer_wbinvl1_vol
	v_and_b32_e32 v0, 1, v0
	s_branch .LBB7_244
.LBB7_249:
	global_load_dwordx2 v[2:3], v[6:7], off
	s_and_saveexec_b64 s[12:13], s[4:5]
	s_cbranch_execz .LBB7_252
; %bb.250:
	v_mov_b32_e32 v8, 0
	global_load_dwordx2 v[0:1], v8, s[6:7] offset:40
	global_load_dwordx2 v[10:11], v8, s[6:7] offset:24 glc
	global_load_dwordx2 v[12:13], v8, s[6:7]
	v_mov_b32_e32 v5, s11
	s_mov_b64 s[4:5], 0
	s_waitcnt vmcnt(2)
	v_add_co_u32_e32 v7, vcc, 1, v0
	v_addc_co_u32_e32 v9, vcc, 0, v1, vcc
	v_add_co_u32_e32 v4, vcc, s10, v7
	v_addc_co_u32_e32 v5, vcc, v9, v5, vcc
	v_cmp_eq_u64_e32 vcc, 0, v[4:5]
	v_cndmask_b32_e32 v5, v5, v9, vcc
	v_cndmask_b32_e32 v4, v4, v7, vcc
	v_and_b32_e32 v1, v5, v1
	v_and_b32_e32 v0, v4, v0
	v_mul_lo_u32 v1, v1, 24
	v_mul_hi_u32 v7, v0, 24
	v_mul_lo_u32 v0, v0, 24
	v_add_u32_e32 v1, v7, v1
	s_waitcnt vmcnt(0)
	v_add_co_u32_e32 v0, vcc, v12, v0
	v_addc_co_u32_e32 v1, vcc, v13, v1, vcc
	v_mov_b32_e32 v6, v10
	global_store_dwordx2 v[0:1], v[10:11], off
	v_mov_b32_e32 v7, v11
	buffer_wbl2
	s_waitcnt vmcnt(0)
	global_atomic_cmpswap_x2 v[6:7], v8, v[4:7], s[6:7] offset:24 glc
	s_waitcnt vmcnt(0)
	v_cmp_ne_u64_e32 vcc, v[6:7], v[10:11]
	s_and_b64 exec, exec, vcc
	s_cbranch_execz .LBB7_252
.LBB7_251:                              ; =>This Inner Loop Header: Depth=1
	s_sleep 1
	global_store_dwordx2 v[0:1], v[6:7], off
	buffer_wbl2
	s_waitcnt vmcnt(0)
	global_atomic_cmpswap_x2 v[10:11], v8, v[4:7], s[6:7] offset:24 glc
	s_waitcnt vmcnt(0)
	v_cmp_eq_u64_e32 vcc, v[10:11], v[6:7]
	s_or_b64 s[4:5], vcc, s[4:5]
	v_pk_mov_b32 v[6:7], v[10:11], v[10:11] op_sel:[0,1]
	s_andn2_b64 exec, exec, s[4:5]
	s_cbranch_execnz .LBB7_251
.LBB7_252:
	s_or_b64 exec, exec, s[12:13]
.LBB7_253:
	v_readfirstlane_b32 s4, v35
	v_cmp_eq_u32_e64 s[4:5], s4, v35
	s_waitcnt vmcnt(0)
	v_pk_mov_b32 v[0:1], 0, 0
	s_and_saveexec_b64 s[10:11], s[4:5]
	s_cbranch_execz .LBB7_259
; %bb.254:
	v_mov_b32_e32 v4, 0
	global_load_dwordx2 v[8:9], v4, s[6:7] offset:24 glc
	s_waitcnt vmcnt(0)
	buffer_invl2
	buffer_wbinvl1_vol
	global_load_dwordx2 v[0:1], v4, s[6:7] offset:40
	global_load_dwordx2 v[6:7], v4, s[6:7]
	s_waitcnt vmcnt(1)
	v_and_b32_e32 v0, v0, v8
	v_and_b32_e32 v1, v1, v9
	v_mul_lo_u32 v1, v1, 24
	v_mul_hi_u32 v5, v0, 24
	v_mul_lo_u32 v0, v0, 24
	v_add_u32_e32 v1, v5, v1
	s_waitcnt vmcnt(0)
	v_add_co_u32_e32 v0, vcc, v6, v0
	v_addc_co_u32_e32 v1, vcc, v7, v1, vcc
	global_load_dwordx2 v[6:7], v[0:1], off glc
	s_waitcnt vmcnt(0)
	global_atomic_cmpswap_x2 v[0:1], v4, v[6:9], s[6:7] offset:24 glc
	s_waitcnt vmcnt(0)
	buffer_invl2
	buffer_wbinvl1_vol
	v_cmp_ne_u64_e32 vcc, v[0:1], v[8:9]
	s_and_saveexec_b64 s[12:13], vcc
	s_cbranch_execz .LBB7_258
; %bb.255:
	s_mov_b64 s[14:15], 0
.LBB7_256:                              ; =>This Inner Loop Header: Depth=1
	s_sleep 1
	global_load_dwordx2 v[6:7], v4, s[6:7] offset:40
	global_load_dwordx2 v[10:11], v4, s[6:7]
	v_pk_mov_b32 v[8:9], v[0:1], v[0:1] op_sel:[0,1]
	s_waitcnt vmcnt(1)
	v_and_b32_e32 v0, v6, v8
	s_waitcnt vmcnt(0)
	v_mad_u64_u32 v[0:1], s[16:17], v0, 24, v[10:11]
	v_and_b32_e32 v5, v7, v9
	v_mov_b32_e32 v6, v1
	v_mad_u64_u32 v[6:7], s[16:17], v5, 24, v[6:7]
	v_mov_b32_e32 v1, v6
	global_load_dwordx2 v[6:7], v[0:1], off glc
	s_waitcnt vmcnt(0)
	global_atomic_cmpswap_x2 v[0:1], v4, v[6:9], s[6:7] offset:24 glc
	s_waitcnt vmcnt(0)
	buffer_invl2
	buffer_wbinvl1_vol
	v_cmp_eq_u64_e32 vcc, v[0:1], v[8:9]
	s_or_b64 s[14:15], vcc, s[14:15]
	s_andn2_b64 exec, exec, s[14:15]
	s_cbranch_execnz .LBB7_256
; %bb.257:
	s_or_b64 exec, exec, s[14:15]
.LBB7_258:
	s_or_b64 exec, exec, s[12:13]
.LBB7_259:
	s_or_b64 exec, exec, s[10:11]
	v_mov_b32_e32 v5, 0
	global_load_dwordx2 v[10:11], v5, s[6:7] offset:40
	global_load_dwordx4 v[6:9], v5, s[6:7]
	v_readfirstlane_b32 s10, v0
	v_readfirstlane_b32 s11, v1
	s_mov_b64 s[12:13], exec
	s_waitcnt vmcnt(1)
	v_readfirstlane_b32 s14, v10
	v_readfirstlane_b32 s15, v11
	s_and_b64 s[14:15], s[10:11], s[14:15]
	s_mul_i32 s16, s15, 24
	s_mul_hi_u32 s17, s14, 24
	s_mul_i32 s18, s14, 24
	s_add_i32 s16, s17, s16
	v_mov_b32_e32 v0, s16
	s_waitcnt vmcnt(0)
	v_add_co_u32_e32 v10, vcc, s18, v6
	v_addc_co_u32_e32 v11, vcc, v7, v0, vcc
	s_and_saveexec_b64 s[16:17], s[4:5]
	s_cbranch_execz .LBB7_261
; %bb.260:
	v_pk_mov_b32 v[12:13], s[12:13], s[12:13] op_sel:[0,1]
	v_mov_b32_e32 v14, 2
	v_mov_b32_e32 v15, 1
	global_store_dwordx4 v[10:11], v[12:15], off offset:8
.LBB7_261:
	s_or_b64 exec, exec, s[16:17]
	s_lshl_b64 s[12:13], s[14:15], 12
	v_mov_b32_e32 v1, s13
	v_add_co_u32_e32 v0, vcc, s12, v8
	s_movk_i32 s12, 0xff1f
	v_addc_co_u32_e32 v1, vcc, v9, v1, vcc
	v_and_or_b32 v2, v2, s12, 32
	s_mov_b32 s12, 0
	v_add_co_u32_e32 v8, vcc, v0, v34
	v_mov_b32_e32 v4, 0x41
	v_readfirstlane_b32 s16, v0
	v_readfirstlane_b32 s17, v1
	s_mov_b32 s13, s12
	v_addc_co_u32_e32 v9, vcc, 0, v1, vcc
	s_mov_b32 s14, s12
	s_mov_b32 s15, s12
	s_nop 0
	global_store_dwordx4 v34, v[2:5], s[16:17]
	v_pk_mov_b32 v[0:1], s[12:13], s[12:13] op_sel:[0,1]
	v_pk_mov_b32 v[2:3], s[14:15], s[14:15] op_sel:[0,1]
	global_store_dwordx4 v34, v[0:3], s[16:17] offset:16
	global_store_dwordx4 v34, v[0:3], s[16:17] offset:32
	;; [unrolled: 1-line block ×3, first 2 shown]
	s_and_saveexec_b64 s[12:13], s[4:5]
	s_cbranch_execz .LBB7_269
; %bb.262:
	v_mov_b32_e32 v12, 0
	global_load_dwordx2 v[16:17], v12, s[6:7] offset:32 glc
	global_load_dwordx2 v[0:1], v12, s[6:7] offset:40
	v_mov_b32_e32 v14, s10
	v_mov_b32_e32 v15, s11
	s_waitcnt vmcnt(0)
	v_readfirstlane_b32 s14, v0
	v_readfirstlane_b32 s15, v1
	s_and_b64 s[14:15], s[14:15], s[10:11]
	s_mul_i32 s15, s15, 24
	s_mul_hi_u32 s16, s14, 24
	s_mul_i32 s14, s14, 24
	s_add_i32 s15, s16, s15
	v_mov_b32_e32 v0, s15
	v_add_co_u32_e32 v4, vcc, s14, v6
	v_addc_co_u32_e32 v5, vcc, v7, v0, vcc
	global_store_dwordx2 v[4:5], v[16:17], off
	buffer_wbl2
	s_waitcnt vmcnt(0)
	global_atomic_cmpswap_x2 v[2:3], v12, v[14:17], s[6:7] offset:32 glc
	s_waitcnt vmcnt(0)
	v_cmp_ne_u64_e32 vcc, v[2:3], v[16:17]
	s_and_saveexec_b64 s[14:15], vcc
	s_cbranch_execz .LBB7_265
; %bb.263:
	s_mov_b64 s[16:17], 0
.LBB7_264:                              ; =>This Inner Loop Header: Depth=1
	s_sleep 1
	global_store_dwordx2 v[4:5], v[2:3], off
	v_mov_b32_e32 v0, s10
	v_mov_b32_e32 v1, s11
	buffer_wbl2
	s_waitcnt vmcnt(0)
	global_atomic_cmpswap_x2 v[0:1], v12, v[0:3], s[6:7] offset:32 glc
	s_waitcnt vmcnt(0)
	v_cmp_eq_u64_e32 vcc, v[0:1], v[2:3]
	s_or_b64 s[16:17], vcc, s[16:17]
	v_pk_mov_b32 v[2:3], v[0:1], v[0:1] op_sel:[0,1]
	s_andn2_b64 exec, exec, s[16:17]
	s_cbranch_execnz .LBB7_264
.LBB7_265:
	s_or_b64 exec, exec, s[14:15]
	v_mov_b32_e32 v3, 0
	global_load_dwordx2 v[0:1], v3, s[6:7] offset:16
	s_mov_b64 s[14:15], exec
	v_mbcnt_lo_u32_b32 v2, s14, 0
	v_mbcnt_hi_u32_b32 v2, s15, v2
	v_cmp_eq_u32_e32 vcc, 0, v2
	s_and_saveexec_b64 s[16:17], vcc
	s_cbranch_execz .LBB7_267
; %bb.266:
	s_bcnt1_i32_b64 s14, s[14:15]
	v_mov_b32_e32 v2, s14
	buffer_wbl2
	s_waitcnt vmcnt(0)
	global_atomic_add_x2 v[0:1], v[2:3], off offset:8
.LBB7_267:
	s_or_b64 exec, exec, s[16:17]
	s_waitcnt vmcnt(0)
	global_load_dwordx2 v[2:3], v[0:1], off offset:16
	s_waitcnt vmcnt(0)
	v_cmp_eq_u64_e32 vcc, 0, v[2:3]
	s_cbranch_vccnz .LBB7_269
; %bb.268:
	global_load_dword v0, v[0:1], off offset:24
	v_mov_b32_e32 v1, 0
	buffer_wbl2
	s_waitcnt vmcnt(0)
	global_store_dwordx2 v[2:3], v[0:1], off
	v_and_b32_e32 v0, 0xffffff, v0
	v_readfirstlane_b32 m0, v0
	s_sendmsg sendmsg(MSG_INTERRUPT)
.LBB7_269:
	s_or_b64 exec, exec, s[12:13]
	s_branch .LBB7_273
.LBB7_270:                              ;   in Loop: Header=BB7_273 Depth=1
	s_or_b64 exec, exec, s[12:13]
	v_readfirstlane_b32 s12, v0
	s_cmp_eq_u32 s12, 0
	s_cbranch_scc1 .LBB7_272
; %bb.271:                              ;   in Loop: Header=BB7_273 Depth=1
	s_sleep 1
	s_cbranch_execnz .LBB7_273
	s_branch .LBB7_275
.LBB7_272:
	s_branch .LBB7_275
.LBB7_273:                              ; =>This Inner Loop Header: Depth=1
	v_mov_b32_e32 v0, 1
	s_and_saveexec_b64 s[12:13], s[4:5]
	s_cbranch_execz .LBB7_270
; %bb.274:                              ;   in Loop: Header=BB7_273 Depth=1
	global_load_dword v0, v[10:11], off offset:20 glc
	s_waitcnt vmcnt(0)
	buffer_invl2
	buffer_wbinvl1_vol
	v_and_b32_e32 v0, 1, v0
	s_branch .LBB7_270
.LBB7_275:
	global_load_dwordx2 v[0:1], v[8:9], off
	s_and_saveexec_b64 s[12:13], s[4:5]
	s_cbranch_execz .LBB7_278
; %bb.276:
	v_mov_b32_e32 v8, 0
	global_load_dwordx2 v[6:7], v8, s[6:7] offset:40
	global_load_dwordx2 v[10:11], v8, s[6:7] offset:24 glc
	global_load_dwordx2 v[12:13], v8, s[6:7]
	v_mov_b32_e32 v3, s11
	s_mov_b64 s[4:5], 0
	s_waitcnt vmcnt(2)
	v_add_co_u32_e32 v5, vcc, 1, v6
	v_addc_co_u32_e32 v9, vcc, 0, v7, vcc
	v_add_co_u32_e32 v2, vcc, s10, v5
	v_addc_co_u32_e32 v3, vcc, v9, v3, vcc
	v_cmp_eq_u64_e32 vcc, 0, v[2:3]
	v_cndmask_b32_e32 v3, v3, v9, vcc
	v_cndmask_b32_e32 v2, v2, v5, vcc
	v_and_b32_e32 v5, v3, v7
	v_and_b32_e32 v6, v2, v6
	v_mul_lo_u32 v5, v5, 24
	v_mul_hi_u32 v7, v6, 24
	v_mul_lo_u32 v6, v6, 24
	v_add_u32_e32 v5, v7, v5
	s_waitcnt vmcnt(0)
	v_add_co_u32_e32 v6, vcc, v12, v6
	v_addc_co_u32_e32 v7, vcc, v13, v5, vcc
	v_mov_b32_e32 v4, v10
	global_store_dwordx2 v[6:7], v[10:11], off
	v_mov_b32_e32 v5, v11
	buffer_wbl2
	s_waitcnt vmcnt(0)
	global_atomic_cmpswap_x2 v[4:5], v8, v[2:5], s[6:7] offset:24 glc
	s_waitcnt vmcnt(0)
	v_cmp_ne_u64_e32 vcc, v[4:5], v[10:11]
	s_and_b64 exec, exec, vcc
	s_cbranch_execz .LBB7_278
.LBB7_277:                              ; =>This Inner Loop Header: Depth=1
	s_sleep 1
	global_store_dwordx2 v[6:7], v[4:5], off
	buffer_wbl2
	s_waitcnt vmcnt(0)
	global_atomic_cmpswap_x2 v[10:11], v8, v[2:5], s[6:7] offset:24 glc
	s_waitcnt vmcnt(0)
	v_cmp_eq_u64_e32 vcc, v[10:11], v[4:5]
	s_or_b64 s[4:5], vcc, s[4:5]
	v_pk_mov_b32 v[4:5], v[10:11], v[10:11] op_sel:[0,1]
	s_andn2_b64 exec, exec, s[4:5]
	s_cbranch_execnz .LBB7_277
.LBB7_278:
	s_or_b64 exec, exec, s[12:13]
	s_getpc_b64 s[4:5]
	s_add_u32 s4, s4, __FUNCTION__._ZL18flash_attn_ext_vecILi64ELi1EL9ggml_type6ELS0_8ELb1EEvPKcS2_S2_S2_S2_PKiPfP15HIP_vector_typeIfLj2EEffffjfiS6_IjLj3EEiiiiiiiiiiiliiliiiiil@rel32@lo+4
	s_addc_u32 s5, s5, __FUNCTION__._ZL18flash_attn_ext_vecILi64ELi1EL9ggml_type6ELS0_8ELb1EEvPKcS2_S2_S2_S2_PKiPfP15HIP_vector_typeIfLj2EEffffjfiS6_IjLj3EEiiiiiiiiiiiliiliiiiil@rel32@hi+12
	s_cmp_lg_u64 s[4:5], 0
	s_cselect_b32 s10, 19, 0
	s_mov_b64 s[8:9], s[26:27]
	v_mov_b32_e32 v2, s4
	v_mov_b32_e32 v3, s5
	;; [unrolled: 1-line block ×4, first 2 shown]
	s_getpc_b64 s[6:7]
	s_add_u32 s6, s6, __ockl_printf_append_string_n@rel32@lo+4
	s_addc_u32 s7, s7, __ockl_printf_append_string_n@rel32@hi+12
	s_swappc_b64 s[30:31], s[6:7]
	s_mov_b64 s[8:9], s[26:27]
	v_mov_b32_e32 v2, 0x514
	v_mov_b32_e32 v3, 0
	;; [unrolled: 1-line block ×3, first 2 shown]
	s_getpc_b64 s[4:5]
	s_add_u32 s4, s4, __ockl_printf_append_args@rel32@lo+4
	s_addc_u32 s5, s5, __ockl_printf_append_args@rel32@hi+12
	s_swappc_b64 s[30:31], s[4:5]
	s_trap 2
.Lfunc_end7:
	.size	_ZL14no_device_codePKciS0_iS0_, .Lfunc_end7-_ZL14no_device_codePKciS0_iS0_
                                        ; -- End function
	.section	.AMDGPU.csdata,"",@progbits
; Function info:
; codeLenInByte = 9988
; NumSgprs: 38
; NumVgprs: 39
; NumAgprs: 0
; TotalNumVgprs: 39
; ScratchSize: 16
; MemoryBound: 0
	.section	.text._ZL18flash_attn_ext_vecILi64ELi1EL9ggml_type6ELS0_8ELb1EEvPKcS2_S2_S2_S2_PKiPfP15HIP_vector_typeIfLj2EEffffjfiS6_IjLj3EEiiiiiiiiiiiliiliiiiil,"axG",@progbits,_ZL18flash_attn_ext_vecILi64ELi1EL9ggml_type6ELS0_8ELb1EEvPKcS2_S2_S2_S2_PKiPfP15HIP_vector_typeIfLj2EEffffjfiS6_IjLj3EEiiiiiiiiiiiliiliiiiil,comdat
	.globl	_ZL18flash_attn_ext_vecILi64ELi1EL9ggml_type6ELS0_8ELb1EEvPKcS2_S2_S2_S2_PKiPfP15HIP_vector_typeIfLj2EEffffjfiS6_IjLj3EEiiiiiiiiiiiliiliiiiil ; -- Begin function _ZL18flash_attn_ext_vecILi64ELi1EL9ggml_type6ELS0_8ELb1EEvPKcS2_S2_S2_S2_PKiPfP15HIP_vector_typeIfLj2EEffffjfiS6_IjLj3EEiiiiiiiiiiiliiliiiiil
	.p2align	8
	.type	_ZL18flash_attn_ext_vecILi64ELi1EL9ggml_type6ELS0_8ELb1EEvPKcS2_S2_S2_S2_PKiPfP15HIP_vector_typeIfLj2EEffffjfiS6_IjLj3EEiiiiiiiiiiiliiliiiiil,@function
_ZL18flash_attn_ext_vecILi64ELi1EL9ggml_type6ELS0_8ELb1EEvPKcS2_S2_S2_S2_PKiPfP15HIP_vector_typeIfLj2EEffffjfiS6_IjLj3EEiiiiiiiiiiiliiliiiiil: ; @_ZL18flash_attn_ext_vecILi64ELi1EL9ggml_type6ELS0_8ELb1EEvPKcS2_S2_S2_S2_PKiPfP15HIP_vector_typeIfLj2EEffffjfiS6_IjLj3EEiiiiiiiiiiiliiliiiiil
; %bb.0:
	s_add_u32 flat_scratch_lo, s6, s9
	s_addc_u32 flat_scratch_hi, s7, 0
	s_add_u32 s0, s0, s9
	s_addc_u32 s1, s1, 0
	s_add_u32 s8, s4, 0xd0
	s_addc_u32 s9, s5, 0
	s_mov_b32 s32, 0
	s_getpc_b64 s[4:5]
	s_add_u32 s4, s4, _ZL14no_device_codePKciS0_iS0_@rel32@lo+4
	s_addc_u32 s5, s5, _ZL14no_device_codePKciS0_iS0_@rel32@hi+12
	s_swappc_b64 s[30:31], s[4:5]
	.section	.rodata,"a",@progbits
	.p2align	6, 0x0
	.amdhsa_kernel _ZL18flash_attn_ext_vecILi64ELi1EL9ggml_type6ELS0_8ELb1EEvPKcS2_S2_S2_S2_PKiPfP15HIP_vector_typeIfLj2EEffffjfiS6_IjLj3EEiiiiiiiiiiiliiliiiiil
		.amdhsa_group_segment_fixed_size 0
		.amdhsa_private_segment_fixed_size 16
		.amdhsa_kernarg_size 464
		.amdhsa_user_sgpr_count 8
		.amdhsa_user_sgpr_private_segment_buffer 1
		.amdhsa_user_sgpr_dispatch_ptr 0
		.amdhsa_user_sgpr_queue_ptr 0
		.amdhsa_user_sgpr_kernarg_segment_ptr 1
		.amdhsa_user_sgpr_dispatch_id 0
		.amdhsa_user_sgpr_flat_scratch_init 1
		.amdhsa_user_sgpr_kernarg_preload_length 0
		.amdhsa_user_sgpr_kernarg_preload_offset 0
		.amdhsa_user_sgpr_private_segment_size 0
		.amdhsa_uses_dynamic_stack 0
		.amdhsa_system_sgpr_private_segment_wavefront_offset 1
		.amdhsa_system_sgpr_workgroup_id_x 1
		.amdhsa_system_sgpr_workgroup_id_y 0
		.amdhsa_system_sgpr_workgroup_id_z 0
		.amdhsa_system_sgpr_workgroup_info 0
		.amdhsa_system_vgpr_workitem_id 0
		.amdhsa_next_free_vgpr 39
		.amdhsa_next_free_sgpr 34
		.amdhsa_accum_offset 40
		.amdhsa_reserve_vcc 1
		.amdhsa_reserve_flat_scratch 1
		.amdhsa_float_round_mode_32 0
		.amdhsa_float_round_mode_16_64 0
		.amdhsa_float_denorm_mode_32 3
		.amdhsa_float_denorm_mode_16_64 3
		.amdhsa_dx10_clamp 1
		.amdhsa_ieee_mode 1
		.amdhsa_fp16_overflow 0
		.amdhsa_tg_split 0
		.amdhsa_exception_fp_ieee_invalid_op 0
		.amdhsa_exception_fp_denorm_src 0
		.amdhsa_exception_fp_ieee_div_zero 0
		.amdhsa_exception_fp_ieee_overflow 0
		.amdhsa_exception_fp_ieee_underflow 0
		.amdhsa_exception_fp_ieee_inexact 0
		.amdhsa_exception_int_div_zero 0
	.end_amdhsa_kernel
	.section	.text._ZL18flash_attn_ext_vecILi64ELi1EL9ggml_type6ELS0_8ELb1EEvPKcS2_S2_S2_S2_PKiPfP15HIP_vector_typeIfLj2EEffffjfiS6_IjLj3EEiiiiiiiiiiiliiliiiiil,"axG",@progbits,_ZL18flash_attn_ext_vecILi64ELi1EL9ggml_type6ELS0_8ELb1EEvPKcS2_S2_S2_S2_PKiPfP15HIP_vector_typeIfLj2EEffffjfiS6_IjLj3EEiiiiiiiiiiiliiliiiiil,comdat
.Lfunc_end8:
	.size	_ZL18flash_attn_ext_vecILi64ELi1EL9ggml_type6ELS0_8ELb1EEvPKcS2_S2_S2_S2_PKiPfP15HIP_vector_typeIfLj2EEffffjfiS6_IjLj3EEiiiiiiiiiiiliiliiiiil, .Lfunc_end8-_ZL18flash_attn_ext_vecILi64ELi1EL9ggml_type6ELS0_8ELb1EEvPKcS2_S2_S2_S2_PKiPfP15HIP_vector_typeIfLj2EEffffjfiS6_IjLj3EEiiiiiiiiiiiliiliiiiil
                                        ; -- End function
	.section	.AMDGPU.csdata,"",@progbits
; Kernel info:
; codeLenInByte = 56
; NumSgprs: 40
; NumVgprs: 39
; NumAgprs: 0
; TotalNumVgprs: 39
; ScratchSize: 16
; MemoryBound: 0
; FloatMode: 240
; IeeeMode: 1
; LDSByteSize: 0 bytes/workgroup (compile time only)
; SGPRBlocks: 4
; VGPRBlocks: 4
; NumSGPRsForWavesPerEU: 40
; NumVGPRsForWavesPerEU: 39
; AccumOffset: 40
; Occupancy: 8
; WaveLimiterHint : 1
; COMPUTE_PGM_RSRC2:SCRATCH_EN: 1
; COMPUTE_PGM_RSRC2:USER_SGPR: 8
; COMPUTE_PGM_RSRC2:TRAP_HANDLER: 0
; COMPUTE_PGM_RSRC2:TGID_X_EN: 1
; COMPUTE_PGM_RSRC2:TGID_Y_EN: 0
; COMPUTE_PGM_RSRC2:TGID_Z_EN: 0
; COMPUTE_PGM_RSRC2:TIDIG_COMP_CNT: 0
; COMPUTE_PGM_RSRC3_GFX90A:ACCUM_OFFSET: 9
; COMPUTE_PGM_RSRC3_GFX90A:TG_SPLIT: 0
	.section	.text._ZL18flash_attn_ext_vecILi64ELi2EL9ggml_type6ELS0_8ELb0EEvPKcS2_S2_S2_S2_PKiPfP15HIP_vector_typeIfLj2EEffffjfiS6_IjLj3EEiiiiiiiiiiiliiliiiiil,"axG",@progbits,_ZL18flash_attn_ext_vecILi64ELi2EL9ggml_type6ELS0_8ELb0EEvPKcS2_S2_S2_S2_PKiPfP15HIP_vector_typeIfLj2EEffffjfiS6_IjLj3EEiiiiiiiiiiiliiliiiiil,comdat
	.globl	_ZL18flash_attn_ext_vecILi64ELi2EL9ggml_type6ELS0_8ELb0EEvPKcS2_S2_S2_S2_PKiPfP15HIP_vector_typeIfLj2EEffffjfiS6_IjLj3EEiiiiiiiiiiiliiliiiiil ; -- Begin function _ZL18flash_attn_ext_vecILi64ELi2EL9ggml_type6ELS0_8ELb0EEvPKcS2_S2_S2_S2_PKiPfP15HIP_vector_typeIfLj2EEffffjfiS6_IjLj3EEiiiiiiiiiiiliiliiiiil
	.p2align	8
	.type	_ZL18flash_attn_ext_vecILi64ELi2EL9ggml_type6ELS0_8ELb0EEvPKcS2_S2_S2_S2_PKiPfP15HIP_vector_typeIfLj2EEffffjfiS6_IjLj3EEiiiiiiiiiiiliiliiiiil,@function
_ZL18flash_attn_ext_vecILi64ELi2EL9ggml_type6ELS0_8ELb0EEvPKcS2_S2_S2_S2_PKiPfP15HIP_vector_typeIfLj2EEffffjfiS6_IjLj3EEiiiiiiiiiiiliiliiiiil: ; @_ZL18flash_attn_ext_vecILi64ELi2EL9ggml_type6ELS0_8ELb0EEvPKcS2_S2_S2_S2_PKiPfP15HIP_vector_typeIfLj2EEffffjfiS6_IjLj3EEiiiiiiiiiiiliiliiiiil
; %bb.0:
	s_load_dwordx2 s[34:35], s[6:7], 0x64
	s_load_dwordx2 s[46:47], s[6:7], 0x80
	;; [unrolled: 1-line block ×3, first 2 shown]
	v_mov_b32_e32 v121, 1.0
	s_waitcnt lgkmcnt(0)
	v_cvt_f32_u32_e32 v1, s35
	s_sub_i32 s0, 0, s35
	v_rcp_iflag_f32_e32 v1, v1
	v_mul_f32_e32 v1, 0x4f7ffffe, v1
	v_cvt_u32_f32_e32 v1, v1
	v_readfirstlane_b32 s1, v1
	s_mul_i32 s0, s0, s1
	s_mul_hi_u32 s0, s1, s0
	s_add_i32 s1, s1, s0
	s_mul_hi_u32 s0, s10, s1
	s_mul_i32 s1, s0, s35
	s_sub_i32 s1, s10, s1
	s_add_i32 s2, s0, 1
	s_sub_i32 s3, s1, s35
	s_cmp_ge_u32 s1, s35
	s_cselect_b32 s0, s2, s0
	s_cselect_b32 s1, s3, s1
	s_add_i32 s2, s0, 1
	s_cmp_ge_u32 s1, s35
	s_cselect_b32 s52, s2, s0
	s_abs_i32 s0, s47
	v_cvt_f32_u32_e32 v1, s0
	s_mul_i32 s3, s52, s35
	s_sub_i32 s11, 0, s0
	s_sub_i32 s36, s10, s3
	v_rcp_iflag_f32_e32 v1, v1
	s_abs_i32 s2, s35
	s_xor_b32 s1, s35, s47
	s_ashr_i32 s1, s1, 31
	v_mul_f32_e32 v1, 0x4f7ffffe, v1
	v_cvt_u32_f32_e32 v1, v1
	v_readfirstlane_b32 s3, v1
	s_mul_i32 s11, s11, s3
	s_mul_hi_u32 s10, s3, s11
	s_add_i32 s3, s3, s10
	s_mul_hi_u32 s3, s2, s3
	s_mul_i32 s10, s3, s0
	s_sub_i32 s2, s2, s10
	s_add_i32 s11, s3, 1
	s_sub_i32 s10, s2, s0
	s_cmp_ge_u32 s2, s0
	s_cselect_b32 s3, s11, s3
	s_cselect_b32 s2, s10, s2
	s_add_i32 s10, s3, 1
	s_cmp_ge_u32 s2, s0
	s_cselect_b32 s0, s10, s3
	s_xor_b32 s0, s0, s1
	s_sub_i32 s43, s0, s1
	s_abs_i32 s40, s40
	s_abs_i32 s42, s43
	v_cvt_f32_u32_e32 v1, s40
	v_cvt_f32_u32_e32 v2, s42
	s_load_dwordx4 s[12:15], s[6:7], 0x40
	s_load_dword s0, s[6:7], 0x50
	v_rcp_iflag_f32_e32 v1, v1
	v_rcp_iflag_f32_e32 v2, v2
	s_waitcnt lgkmcnt(0)
	v_cmp_le_f32_e64 s[2:3], s13, 0
	s_and_b64 vcc, exec, s[2:3]
	v_mul_f32_e32 v1, 0x4f7ffffe, v1
	v_mul_f32_e32 v2, 0x4f7ffffe, v2
	v_cvt_u32_f32_e32 v1, v1
	v_cvt_u32_f32_e32 v2, v2
	v_readfirstlane_b32 s13, v1
	v_readfirstlane_b32 s44, v2
	s_cbranch_vccnz .LBB9_2
; %bb.1:
	s_sub_i32 s1, s36, s0
	s_lshl_b32 s1, s1, 1
	s_add_i32 s2, s36, 1
	s_or_b32 s3, s1, 1
	s_cmp_lt_u32 s36, s0
	s_cselect_b64 vcc, -1, 0
	s_and_b64 s[0:1], vcc, exec
	v_mov_b32_e32 v1, s15
	v_mov_b32_e32 v2, s14
	s_cselect_b32 s0, s2, s3
	v_cndmask_b32_e32 v18, v1, v2, vcc
	v_cvt_f32_i32_e32 v1, s0
	v_cmp_neq_f32_e32 vcc, 1.0, v18
	s_mov_b32 s0, 0x3f2aaaab
	s_movk_i32 s2, 0x204
	v_cndmask_b32_e32 v19, 1.0, v1, vcc
	v_cmp_eq_f32_e32 vcc, 0, v19
	v_cndmask_b32_e64 v20, |v18|, 1.0, vcc
	v_frexp_mant_f32_e32 v1, v20
	v_cmp_gt_f32_e64 s[0:1], s0, v1
	v_cndmask_b32_e64 v2, 1.0, 2.0, s[0:1]
	v_mul_f32_e32 v1, v1, v2
	v_add_f32_e32 v2, 1.0, v1
	v_rcp_f32_e32 v10, v2
	v_add_f32_e32 v3, -1.0, v2
	v_sub_f32_e32 v5, v1, v3
	v_add_f32_e32 v3, -1.0, v1
	v_mul_f32_e32 v1, v3, v10
	v_mul_f32_e32 v4, v2, v1
	v_fma_f32 v6, v1, v2, -v4
	v_fmac_f32_e32 v6, v1, v5
	v_add_f32_e32 v2, v4, v6
	v_sub_f32_e32 v5, v3, v2
	v_pk_add_f32 v[8:9], v[2:3], v[4:5] neg_lo:[0,1] neg_hi:[0,1]
	v_mov_b32_e32 v7, v2
	v_pk_add_f32 v[2:3], v[8:9], v[6:7] neg_lo:[0,1] neg_hi:[0,1]
	v_add_f32_e32 v2, v2, v3
	v_add_f32_e32 v2, v5, v2
	v_mul_f32_e32 v3, v10, v2
	v_add_f32_e32 v2, v1, v3
	v_sub_f32_e32 v1, v2, v1
	v_sub_f32_e32 v1, v3, v1
	v_mul_f32_e32 v3, v2, v2
	v_fma_f32 v5, v2, v2, -v3
	v_add_f32_e32 v4, v1, v1
	v_fmac_f32_e32 v5, v2, v4
	v_add_f32_e32 v4, v3, v5
	v_mov_b32_e32 v6, 0x3e91f4c4
	v_fmac_f32_e32 v6, 0x3e76c4e1, v4
	v_mov_b32_e32 v7, 0x3ecccdef
	v_fmac_f32_e32 v7, v4, v6
	v_sub_f32_e32 v3, v4, v3
	v_sub_f32_e32 v12, v5, v3
	v_mul_f32_e32 v3, v4, v7
	v_fma_f32 v5, v4, v7, -v3
	v_fmac_f32_e32 v5, v12, v7
	v_add_f32_e32 v6, v3, v5
	v_add_f32_e32 v7, 0x3f2aaaaa, v6
	v_sub_f32_e32 v3, v6, v3
	v_sub_f32_e32 v3, v5, v3
	v_add_f32_e32 v5, 0xbf2aaaaa, v7
	v_add_f32_e32 v3, 0x31739010, v3
	v_sub_f32_e32 v5, v6, v5
	v_pk_mul_f32 v[8:9], v[2:3], v[4:5]
	v_fma_f32 v6, v4, v2, -v8
	v_pk_add_f32 v[10:11], v[2:3], v[4:5]
	v_fmac_f32_e32 v6, v4, v1
	v_mov_b32_e32 v9, v11
	v_fmac_f32_e32 v6, v12, v2
	v_pk_add_f32 v[4:5], v[8:9], v[6:7]
	v_sub_f32_e32 v3, v4, v8
	v_sub_f32_e32 v3, v6, v3
	;; [unrolled: 1-line block ×3, first 2 shown]
	v_add_f32_e32 v9, v11, v6
	v_mov_b32_e32 v6, v5
	v_pk_mul_f32 v[6:7], v[4:5], v[6:7]
	v_cvt_f64_f32_e32 v[10:11], v20
	v_frexp_exp_i32_f64_e32 v7, v[10:11]
	v_subbrev_co_u32_e64 v7, s[0:1], 0, v7, s[0:1]
	v_cvt_f32_i32_e32 v7, v7
	v_fma_f32 v8, v4, v5, -v6
	v_fmac_f32_e32 v8, v4, v9
	s_mov_b32 s0, 0x3f317218
	v_mul_f32_e32 v4, 0x3f317218, v7
	v_fmac_f32_e32 v8, v3, v5
	v_fma_f32 v10, v7, s0, -v4
	v_fmac_f32_e32 v10, 0xb102e308, v7
	v_ldexp_f32 v11, v2, 1
	v_add_f32_e32 v5, v6, v8
	v_pk_add_f32 v[2:3], v[4:5], v[10:11]
	v_mov_b32_e32 v12, v5
	v_mov_b32_e32 v13, v3
	;; [unrolled: 1-line block ×3, first 2 shown]
	v_pk_add_f32 v[6:7], v[12:13], v[6:7] neg_lo:[0,1] neg_hi:[0,1]
	v_mov_b32_e32 v9, v5
	v_ldexp_f32 v1, v1, 1
	v_pk_add_f32 v[6:7], v[8:9], v[6:7] neg_lo:[0,1] neg_hi:[0,1]
	v_add_f32_e32 v1, v1, v6
	v_add_f32_e32 v5, v1, v7
	v_pk_add_f32 v[6:7], v[2:3], v[4:5] neg_lo:[0,1] neg_hi:[0,1]
	v_pk_add_f32 v[8:9], v[2:3], v[4:5]
	v_mov_b32_e32 v12, v6
	v_mov_b32_e32 v13, v9
	;; [unrolled: 1-line block ×3, first 2 shown]
	v_pk_add_f32 v[12:13], v[10:11], v[12:13]
	v_mov_b32_e32 v4, v13
	v_pk_add_f32 v[14:15], v[4:5], v[2:3] neg_lo:[0,1] neg_hi:[0,1]
	v_mov_b32_e32 v1, v14
	v_mov_b32_e32 v12, v9
	;; [unrolled: 1-line block ×4, first 2 shown]
	v_pk_add_f32 v[6:7], v[10:11], v[6:7] neg_lo:[0,1] neg_hi:[0,1]
	v_pk_add_f32 v[16:17], v[8:9], v[0:1] neg_lo:[0,1] neg_hi:[0,1]
	;; [unrolled: 1-line block ×3, first 2 shown]
	v_mov_b32_e32 v10, v5
	v_pk_add_f32 v[2:3], v[10:11], v[2:3] neg_lo:[0,1] neg_hi:[0,1]
	v_mov_b32_e32 v16, v6
	v_pk_add_f32 v[8:9], v[16:17], v[2:3]
	v_mov_b32_e32 v10, v9
	v_pk_add_f32 v[10:11], v[8:9], v[10:11]
	v_pk_add_f32 v[4:5], v[4:5], v[10:11]
	v_mov_b32_e32 v7, v13
	v_mov_b32_e32 v9, v4
	v_pk_add_f32 v[12:13], v[8:9], v[6:7] neg_lo:[0,1] neg_hi:[0,1]
	v_mov_b32_e32 v3, v10
	v_sub_f32_e32 v1, v8, v12
	v_pk_add_f32 v[2:3], v[2:3], v[12:13] neg_lo:[0,1] neg_hi:[0,1]
	v_sub_f32_e32 v1, v6, v1
	v_add_f32_e32 v1, v2, v1
	v_add_f32_e32 v1, v1, v3
	;; [unrolled: 1-line block ×3, first 2 shown]
	v_sub_f32_e32 v3, v2, v4
	v_sub_f32_e32 v1, v1, v3
	v_mul_f32_e32 v3, v19, v2
	v_fma_f32 v2, v19, v2, -v3
	v_fmac_f32_e32 v2, v19, v1
	v_add_f32_e32 v1, v3, v2
	v_cmp_class_f32_e64 s[0:1], v3, s2
	v_sub_f32_e32 v4, v1, v3
	v_cndmask_b32_e64 v1, v1, v3, s[0:1]
	s_mov_b32 s10, 0x42b17218
	v_mov_b32_e32 v3, 0x37000000
	v_cmp_eq_f32_e64 s[0:1], s10, v1
	v_cndmask_b32_e64 v3, 0, v3, s[0:1]
	v_sub_f32_e32 v2, v2, v4
	v_sub_f32_e32 v4, v1, v3
	s_mov_b32 s0, 0x3fb8aa3b
	v_mul_f32_e32 v5, 0x3fb8aa3b, v4
	v_fma_f32 v6, v4, s0, -v5
	v_rndne_f32_e32 v7, v5
	v_fmac_f32_e32 v6, 0x32a5705f, v4
	v_sub_f32_e32 v5, v5, v7
	v_add_f32_e32 v5, v5, v6
	v_exp_f32_e32 v5, v5
	v_cvt_i32_f32_e32 v6, v7
	s_mov_b32 s3, 0x7f800000
	v_cmp_neq_f32_e64 s[0:1], |v1|, s3
	v_cndmask_b32_e64 v1, 0, v2, s[0:1]
	s_mov_b32 s0, 0xc2ce8ed0
	v_ldexp_f32 v2, v5, v6
	v_cmp_ngt_f32_e64 s[0:1], s0, v4
	v_add_f32_e32 v1, v3, v1
	v_cndmask_b32_e64 v2, 0, v2, s[0:1]
	v_mov_b32_e32 v3, 0x7f800000
	v_cmp_nlt_f32_e64 s[0:1], s10, v4
	v_cndmask_b32_e64 v2, v3, v2, s[0:1]
	v_fma_f32 v1, v2, v1, v2
	v_cmp_class_f32_e64 s[0:1], v2, s2
	v_trunc_f32_e32 v4, v19
	v_cndmask_b32_e64 v1, v1, v2, s[0:1]
	v_cndmask_b32_e64 v2, v18, 1.0, vcc
	v_cmp_eq_f32_e32 vcc, v4, v19
	v_mul_f32_e32 v4, 0.5, v19
	v_trunc_f32_e32 v6, v4
	v_cmp_neq_f32_e64 s[0:1], v6, v4
	s_and_b64 s[0:1], vcc, s[0:1]
	v_cndmask_b32_e64 v4, 1.0, v2, s[0:1]
	s_brev_b32 s14, -2
	v_mov_b32_e32 v5, 0x7fc00000
	v_bfi_b32 v1, s14, v1, v4
	v_cndmask_b32_e32 v4, v5, v1, vcc
	v_cmp_gt_f32_e32 vcc, 0, v2
	v_cndmask_b32_e32 v1, v1, v4, vcc
	v_cmp_eq_f32_e32 vcc, s3, v20
	v_cmp_eq_f32_e64 s[2:3], 0, v2
	v_cmp_gt_f32_e64 s[10:11], 0, v19
	s_xor_b64 s[10:11], s[10:11], s[2:3]
	v_cndmask_b32_e64 v3, v3, 0, s[10:11]
	v_cndmask_b32_e64 v4, 0, v2, s[0:1]
	v_bfi_b32 v3, s14, v3, v4
	s_or_b64 vcc, vcc, s[2:3]
	v_cndmask_b32_e32 v1, v1, v3, vcc
	v_cmp_o_f32_e32 vcc, v2, v2
	v_cndmask_b32_e32 v121, v5, v1, vcc
.LBB9_2:
	s_load_dwordx2 s[0:1], s[4:5], 0x4
	s_load_dwordx16 s[16:31], s[6:7], 0x0
	v_bfe_u32 v116, v0, 10, 10
	v_and_b32_e32 v111, 0x3ff, v0
	v_bfe_u32 v0, v0, 20, 10
	s_waitcnt lgkmcnt(0)
	s_lshr_b32 s0, s0, 16
	v_mul_u32_u24_e32 v1, s1, v116
	s_mul_i32 s0, s0, s1
	v_mad_u32_u24 v1, s0, v111, v1
	v_add_lshl_u32 v8, v1, v0, 4
	v_mov_b32_e32 v4, 0
	v_add_u32_e32 v0, 0x604, v8
	s_lshl_b32 s33, s8, 1
	ds_write2_b32 v0, v4, v4 offset1:1
	v_add_u32_e32 v0, 0x400, v8
	v_cmp_lt_u32_e64 s[0:1], 1, v116
	v_cmp_gt_u32_e32 vcc, 2, v116
	ds_write2_b32 v0, v4, v4 offset0:128 offset1:131
	s_and_saveexec_b64 s[4:5], vcc
	s_cbranch_execz .LBB9_23
; %bb.3:
	v_or_b32_e32 v0, s33, v116
	v_lshlrev_b32_e32 v2, 7, v116
	v_cmp_le_i32_e32 vcc, s34, v0
	s_and_saveexec_b64 s[2:3], vcc
	s_xor_b64 s[2:3], exec, s[2:3]
	s_cbranch_execz .LBB9_9
; %bb.4:
	v_cmp_gt_u32_e32 vcc, 16, v111
	s_and_saveexec_b64 s[10:11], vcc
	s_cbranch_execz .LBB9_6
; %bb.5:
	v_lshl_add_u32 v0, v111, 2, v2
	v_mov_b32_e32 v1, 0
	ds_write_b32 v0, v1
.LBB9_6:
	s_or_b64 exec, exec, s[10:11]
	v_cmp_gt_u32_e32 vcc, 2, v111
	s_and_saveexec_b64 s[10:11], vcc
	s_cbranch_execz .LBB9_8
; %bb.7:
	v_mov_b32_e32 v0, 0
	v_lshl_add_u32 v2, v111, 3, v2
	v_mov_b32_e32 v1, v0
	ds_write_b64 v2, v[0:1] offset:64
.LBB9_8:
	s_or_b64 exec, exec, s[10:11]
                                        ; implicit-def: $vgpr2
.LBB9_9:
	s_andn2_saveexec_b64 s[2:3], s[2:3]
	s_cbranch_execz .LBB9_23
; %bb.10:
	s_load_dwordx4 s[48:51], s[6:7], 0x70
	v_mov_b32_e32 v5, 0
	v_mov_b32_e32 v7, 0
	s_waitcnt lgkmcnt(0)
	s_mul_i32 s2, s52, s50
	s_mul_i32 s10, s33, s48
	;; [unrolled: 1-line block ×3, first 2 shown]
	s_add_i32 s2, s2, s10
	s_add_i32 s2, s2, s3
	s_ashr_i32 s3, s2, 31
	s_add_u32 s2, s16, s2
	v_mul_lo_u32 v0, v116, s48
	s_addc_u32 s3, s17, s3
	v_ashrrev_i32_e32 v1, 31, v0
	v_mov_b32_e32 v3, s3
	v_add_co_u32_e32 v0, vcc, s2, v0
	v_addc_co_u32_e32 v1, vcc, v3, v1, vcc
	v_lshlrev_b32_e32 v3, 4, v111
	v_add_co_u32_e64 v0, s[2:3], v0, v3
	v_cmp_gt_u32_e32 vcc, 16, v111
	v_addc_co_u32_e64 v1, s[2:3], 0, v1, s[2:3]
	s_and_saveexec_b64 s[2:3], vcc
	s_cbranch_execz .LBB9_12
; %bb.11:
	global_load_dword v3, v[0:1], off
	s_waitcnt vmcnt(0)
	v_mul_f32_e32 v7, s12, v3
.LBB9_12:
	s_or_b64 exec, exec, s[2:3]
	s_and_saveexec_b64 s[2:3], vcc
	s_cbranch_execz .LBB9_14
; %bb.13:
	global_load_dword v3, v[0:1], off offset:4
	s_waitcnt vmcnt(0)
	v_mul_f32_e32 v5, s12, v3
.LBB9_14:
	s_or_b64 exec, exec, s[2:3]
	v_mov_b32_e32 v3, 0
	v_mov_b32_e32 v6, 0
	s_and_saveexec_b64 s[2:3], vcc
	s_cbranch_execz .LBB9_16
; %bb.15:
	global_load_dword v6, v[0:1], off offset:8
	s_waitcnt vmcnt(0)
	v_mul_f32_e32 v6, s12, v6
.LBB9_16:
	s_or_b64 exec, exec, s[2:3]
	s_and_saveexec_b64 s[2:3], vcc
	s_cbranch_execz .LBB9_18
; %bb.17:
	global_load_dword v0, v[0:1], off offset:12
	s_waitcnt vmcnt(0)
	v_mul_f32_e32 v3, s12, v0
.LBB9_18:
	s_or_b64 exec, exec, s[2:3]
	v_mbcnt_lo_u32_b32 v0, -1, 0
	v_mbcnt_hi_u32_b32 v0, -1, v0
	v_and_b32_e32 v1, 0x60, v0
	v_add_u32_e32 v1, 32, v1
	v_xor_b32_e32 v9, 4, v0
	v_cmp_lt_i32_e32 vcc, v9, v1
	v_max_f32_e64 v11, |v5|, |v5|
	v_max_f32_e64 v12, |v7|, |v7|
	v_cndmask_b32_e32 v9, v0, v9, vcc
	v_max_f32_e32 v11, v12, v11
	v_lshlrev_b32_e32 v9, 2, v9
	v_max3_f32 v11, v11, |v6|, |v3|
	ds_bpermute_b32 v12, v9, v11
	v_xor_b32_e32 v10, 2, v0
	v_cmp_lt_i32_e32 vcc, v10, v1
	v_xor_b32_e32 v13, 1, v0
	v_cndmask_b32_e32 v10, v0, v10, vcc
	v_cmp_lt_i32_e32 vcc, v13, v1
	s_waitcnt lgkmcnt(0)
	v_max_f32_e32 v1, v12, v12
	v_lshlrev_b32_e32 v10, 2, v10
	v_max_f32_e32 v1, v11, v1
	ds_bpermute_b32 v11, v10, v1
	v_add_f32_e32 v12, v7, v5
	v_add_f32_e32 v12, v12, v6
	v_cndmask_b32_e32 v0, v0, v13, vcc
	v_add_f32_e32 v12, v12, v3
	s_waitcnt lgkmcnt(0)
	v_max_f32_e32 v11, v11, v11
	v_lshlrev_b32_e32 v0, 2, v0
	ds_bpermute_b32 v9, v9, v12
	v_max_f32_e32 v1, v1, v11
	ds_bpermute_b32 v11, v0, v1
	s_mov_b32 s10, 0x42fe0000
	s_waitcnt lgkmcnt(1)
	v_add_f32_e32 v9, v12, v9
	ds_bpermute_b32 v12, v10, v9
	s_waitcnt lgkmcnt(1)
	v_max_f32_e32 v10, v11, v11
	v_max_f32_e32 v11, v1, v10
	v_div_scale_f32 v13, s[2:3], s10, s10, v11
	v_rcp_f32_e32 v14, v13
	s_waitcnt lgkmcnt(0)
	v_add_f32_e32 v1, v9, v12
	ds_bpermute_b32 v9, v0, v1
	v_mov_b32_e32 v10, 0
	v_fma_f32 v0, -v13, v14, 1.0
	v_fmac_f32_e32 v14, v0, v14
	v_div_scale_f32 v0, vcc, v11, s10, v11
	v_mul_f32_e32 v12, v0, v14
	v_fma_f32 v15, -v13, v12, v0
	v_fmac_f32_e32 v12, v15, v14
	v_fma_f32 v0, -v13, v12, v0
	v_div_fmas_f32 v0, v0, v14, v12
	v_div_fixup_f32 v0, v0, s10, v11
	v_cmp_neq_f32_e32 vcc, 0, v0
	s_and_saveexec_b64 s[2:3], vcc
	s_cbranch_execz .LBB9_20
; %bb.19:
	v_div_scale_f32 v10, s[10:11], v0, v0, v7
	v_rcp_f32_e32 v11, v10
	v_div_scale_f32 v12, vcc, v7, v0, v7
	s_brev_b32 s12, -2
	v_fma_f32 v13, -v10, v11, 1.0
	v_fmac_f32_e32 v11, v13, v11
	v_mul_f32_e32 v13, v12, v11
	v_fma_f32 v14, -v10, v13, v12
	v_fmac_f32_e32 v13, v14, v11
	v_fma_f32 v10, -v10, v13, v12
	v_div_fmas_f32 v10, v10, v11, v13
	v_div_fixup_f32 v7, v10, v0, v7
	v_trunc_f32_e32 v10, v7
	v_sub_f32_e32 v11, v7, v10
	v_cmp_ge_f32_e64 s[10:11], |v11|, 0.5
	v_cndmask_b32_e64 v11, 0, 1.0, s[10:11]
	v_div_scale_f32 v12, s[10:11], v0, v0, v5
	v_rcp_f32_e32 v13, v12
	v_bfi_b32 v7, s12, v11, v7
	v_add_f32_e32 v7, v10, v7
	v_cvt_i32_f32_e32 v7, v7
	v_fma_f32 v10, -v12, v13, 1.0
	v_fmac_f32_e32 v13, v10, v13
	v_div_scale_f32 v10, vcc, v5, v0, v5
	v_mul_f32_e32 v11, v10, v13
	v_fma_f32 v14, -v12, v11, v10
	v_fmac_f32_e32 v11, v14, v13
	v_fma_f32 v10, -v12, v11, v10
	v_div_fmas_f32 v10, v10, v13, v11
	v_div_fixup_f32 v5, v10, v0, v5
	v_trunc_f32_e32 v10, v5
	v_div_scale_f32 v12, s[10:11], v0, v0, v6
	v_sub_f32_e32 v11, v5, v10
	v_rcp_f32_e32 v13, v12
	v_cmp_ge_f32_e64 s[10:11], |v11|, 0.5
	v_cndmask_b32_e64 v11, 0, 1.0, s[10:11]
	v_bfi_b32 v5, s12, v11, v5
	v_add_f32_e32 v5, v10, v5
	v_fma_f32 v10, -v12, v13, 1.0
	v_fmac_f32_e32 v13, v10, v13
	v_div_scale_f32 v10, vcc, v6, v0, v6
	v_mul_f32_e32 v11, v10, v13
	v_fma_f32 v14, -v12, v11, v10
	v_fmac_f32_e32 v11, v14, v13
	v_fma_f32 v10, -v12, v11, v10
	v_div_fmas_f32 v10, v10, v13, v11
	v_div_fixup_f32 v6, v10, v0, v6
	v_trunc_f32_e32 v10, v6
	v_sub_f32_e32 v11, v6, v10
	v_cmp_ge_f32_e64 s[10:11], |v11|, 0.5
	v_cndmask_b32_e64 v11, 0, 1.0, s[10:11]
	v_div_scale_f32 v12, s[10:11], v0, v0, v3
	v_rcp_f32_e32 v13, v12
	v_bfi_b32 v6, s12, v11, v6
	v_add_f32_e32 v6, v10, v6
	v_cvt_i32_f32_e32 v6, v6
	v_fma_f32 v10, -v12, v13, 1.0
	v_fmac_f32_e32 v13, v10, v13
	v_div_scale_f32 v10, vcc, v3, v0, v3
	v_mul_f32_e32 v11, v10, v13
	v_fma_f32 v14, -v12, v11, v10
	v_fmac_f32_e32 v11, v14, v13
	v_fma_f32 v10, -v12, v11, v10
	v_div_fmas_f32 v10, v10, v13, v11
	v_div_fixup_f32 v3, v10, v0, v3
	v_trunc_f32_e32 v10, v3
	v_sub_f32_e32 v11, v3, v10
	v_cmp_ge_f32_e64 s[10:11], |v11|, 0.5
	v_cndmask_b32_e64 v11, 0, 1.0, s[10:11]
	v_bfi_b32 v3, s12, v11, v3
	v_add_f32_e32 v3, v10, v3
	v_cvt_i32_f32_e32 v3, v3
	v_cvt_i32_f32_e32 v5, v5
	v_and_b32_e32 v6, 0xff, v6
	v_lshlrev_b32_e32 v6, 16, v6
	v_lshl_or_b32 v3, v3, 24, v6
	v_mov_b32_e32 v6, 8
	v_lshlrev_b32_sdwa v5, v6, v5 dst_sel:DWORD dst_unused:UNUSED_PAD src0_sel:DWORD src1_sel:BYTE_0
	v_and_b32_e32 v6, 0xff, v7
	v_or3_b32 v10, v3, v5, v6
.LBB9_20:
	s_or_b64 exec, exec, s[2:3]
	v_and_b32_e32 v5, 0x77, v111
	v_lshl_add_u32 v3, v111, 2, v2
	v_cmp_eq_u32_e32 vcc, 0, v5
	ds_write_b32 v3, v10
	s_and_saveexec_b64 s[2:3], vcc
	s_cbranch_execz .LBB9_22
; %bb.21:
	s_waitcnt lgkmcnt(1)
	v_add_f32_e32 v1, v1, v9
	v_add_u32_e32 v2, v2, v111
	ds_write_b64 v2, v[0:1] offset:64
.LBB9_22:
	s_or_b64 exec, exec, s[2:3]
.LBB9_23:
	s_or_b64 exec, exec, s[4:5]
	s_waitcnt lgkmcnt(1)
	v_and_b32_e32 v9, 3, v111
	v_lshlrev_b32_e32 v12, 2, v9
	s_waitcnt lgkmcnt(0)
	s_barrier
	ds_read2_b32 v[14:15], v12 offset1:4
	ds_read2_b32 v[16:17], v12 offset0:8 offset1:12
	ds_read2_b32 v[18:19], v12 offset0:32 offset1:36
	ds_read_b128 v[0:3], v4 offset:64
	ds_read_b128 v[4:7], v4 offset:192
	ds_read2_b32 v[20:21], v12 offset0:40 offset1:44
	s_cmp_eq_u64 s[26:27], 0
	s_mov_b32 s37, s46
	s_waitcnt lgkmcnt(0)
	s_barrier
	s_cbranch_scc1 .LBB9_25
; %bb.24:
	s_load_dword s2, s[6:7], 0xd0
	s_mov_b32 s3, 0
	s_waitcnt lgkmcnt(0)
	s_mul_i32 s2, s2, s52
	s_add_i32 s2, s2, s8
	s_lshl_b64 s[2:3], s[2:3], 2
	s_add_u32 s2, s26, s2
	s_addc_u32 s3, s27, s3
	s_load_dword s37, s[2:3], 0x0
.LBB9_25:
	v_add_u32_e32 v120, 0x600, v8
	v_lshlrev_b32_e32 v8, 5, v116
	s_mov_b32 s2, 0xfeffffff
	s_mov_b32 s39, 0
	v_add_u32_e32 v117, v8, v111
	s_lshl_b32 s26, s9, 7
	s_mov_b32 s3, s2
	s_mov_b32 s38, s39
	s_waitcnt lgkmcnt(0)
	s_cmp_ge_i32 s26, s37
	v_pk_mov_b32 v[22:23], s[38:39], s[38:39] op_sel:[0,1]
	v_pk_mov_b32 v[28:29], s[2:3], s[2:3] op_sel:[0,1]
	v_mbcnt_lo_u32_b32 v122, -1, 0
	v_lshlrev_b32_e32 v119, 2, v111
	v_lshlrev_b32_e32 v118, 1, v117
	s_cbranch_scc1 .LBB9_45
; %bb.26:
	s_sub_i32 s3, 0, s40
	s_mul_i32 s3, s3, s13
	s_mul_hi_u32 s3, s13, s3
	s_sub_i32 s2, 0, s42
	s_add_i32 s3, s13, s3
	s_load_dwordx2 s[48:49], s[6:7], 0x8c
	s_load_dwordx4 s[12:15], s[6:7], 0x98
	s_mul_i32 s2, s2, s44
	s_mul_hi_u32 s2, s44, s2
	s_abs_i32 s4, s36
	s_add_i32 s44, s44, s2
	s_mul_hi_u32 s5, s4, s44
	s_ashr_i32 s8, s36, 31
	s_ashr_i32 s10, s43, 31
	;; [unrolled: 1-line block ×3, first 2 shown]
	s_waitcnt lgkmcnt(0)
	s_mul_i32 s59, s52, s13
	s_mul_i32 s13, s64, s12
	s_xor_b32 s8, s8, s10
	s_mul_i32 s10, s5, s42
	s_mul_hi_u32 s11, s52, s12
	s_add_i32 s59, s59, s13
	s_sub_i32 s4, s4, s10
	s_abs_i32 s2, s52
	s_add_i32 s13, s59, s11
	s_add_i32 s10, s5, 1
	s_sub_i32 s11, s4, s42
	s_cmp_ge_u32 s4, s42
	s_cselect_b32 s5, s10, s5
	s_cselect_b32 s4, s11, s4
	s_add_i32 s10, s5, 1
	s_cmp_ge_u32 s4, s42
	s_cselect_b32 s4, s10, s5
	s_mul_hi_u32 s3, s2, s3
	s_xor_b32 s4, s4, s8
	s_sub_i32 s4, s4, s8
	s_mul_i32 s3, s3, s40
	s_mul_i32 s55, s4, s49
	;; [unrolled: 1-line block ×3, first 2 shown]
	s_sub_i32 s2, s2, s3
	s_ashr_i32 s56, s55, 31
	s_ashr_i32 s54, s15, 31
	s_sub_i32 s3, s2, s40
	s_cmp_ge_u32 s2, s40
	s_cselect_b32 s2, s3, s2
	s_sub_i32 s3, s2, s40
	s_cmp_ge_u32 s2, s40
	s_cselect_b32 s4, s3, s2
	s_load_dwordx2 s[50:51], s[6:7], 0xa8
	s_load_dwordx2 s[2:3], s[6:7], 0xc8
	s_xor_b32 s4, s4, s64
	s_sub_i32 s4, s4, s64
	s_load_dword s10, s[6:7], 0xd4
	s_ashr_i32 s5, s4, 31
	s_waitcnt lgkmcnt(0)
	s_mul_i32 s3, s4, s3
	s_mul_hi_u32 s8, s4, s2
	s_add_i32 s3, s8, s3
	s_mul_i32 s5, s5, s2
	s_mul_i32 s8, s33, s41
	s_add_i32 s49, s3, s5
	s_ashr_i32 s38, s8, 31
	s_cmp_lg_u64 s[22:23], 0
	s_mul_i32 s57, s4, s2
	v_mbcnt_hi_u32_b32 v13, -1, v122
	s_cselect_b64 s[4:5], -1, 0
	s_lshl_b32 s40, s10, 7
	v_and_b32_e32 v11, 0x7c, v13
	s_cmp_lt_i32 s33, s34
	v_add_u32_e32 v22, 4, v11
	v_xor_b32_e32 v11, 2, v13
	s_cselect_b64 s[10:11], -1, 0
	v_cmp_lt_i32_e32 vcc, v11, v22
	v_xor_b32_e32 v23, 1, v13
	s_and_b64 s[42:43], s[4:5], s[10:11]
	s_or_b32 s10, s33, 1
	v_cndmask_b32_e32 v11, v13, v11, vcc
	v_cmp_lt_i32_e32 vcc, v23, v22
	s_cmp_lt_i32 s10, s34
	v_cndmask_b32_e32 v22, v13, v23, vcc
	v_and_b32_e32 v23, 0x60, v13
	s_cselect_b64 s[10:11], -1, 0
	v_add_u32_e32 v26, 32, v23
	v_cmp_eq_u32_e64 s[2:3], 0, v9
	s_and_b64 s[44:45], s[4:5], s[10:11]
	v_cmp_eq_u32_e64 s[4:5], 1, v9
	v_cmp_eq_u32_e64 s[16:17], 2, v9
	v_cmp_eq_u32_e64 s[10:11], 3, v9
	v_xor_b32_e32 v9, 4, v13
	v_cmp_lt_i32_e32 vcc, v9, v26
	s_ashr_i32 s47, s46, 31
	v_cndmask_b32_e32 v23, v13, v9, vcc
	v_xor_b32_e32 v9, 8, v13
	s_add_u32 s60, s18, s55
	s_mul_i32 s53, s52, s12
	v_cmp_lt_i32_e32 vcc, v9, v26
	s_addc_u32 s61, s19, s56
	s_mov_b32 s27, s39
	v_cndmask_b32_e32 v28, v13, v9, vcc
	v_xor_b32_e32 v9, 16, v13
	s_add_u32 s62, s60, s53
	v_and_b32_e32 v10, 0x7c, v111
	v_lshrrev_b32_e32 v27, 4, v111
	v_cmp_lt_i32_e32 vcc, v9, v26
	s_addc_u32 s63, s61, s13
	s_lshl_b64 s[66:67], s[26:27], 1
	v_add_u32_e32 v10, v8, v10
	v_cndmask_b32_e32 v29, v13, v9, vcc
	v_or_b32_e32 v30, v8, v27
	v_add_u32_e32 v13, v8, v27
	v_mov_b32_e32 v8, 0x100
	s_add_u32 s27, s22, s66
	v_add_u32_e32 v24, s46, v10
	v_lshl_add_u32 v123, v13, 1, v8
	v_add_co_u32_e32 v8, vcc, s46, v10
	s_addc_u32 s46, s23, s67
	v_ashrrev_i32_e32 v25, 31, v24
	v_mov_b32_e32 v9, s47
	s_add_u32 s27, s27, s57
	s_mov_b32 s41, s39
	v_addc_co_u32_e32 v9, vcc, 0, v9, vcc
	v_lshlrev_b64 v[24:25], 1, v[24:25]
	s_addc_u32 s65, s46, s49
	v_mov_b32_e32 v26, s65
	v_add_co_u32_e32 v24, vcc, s27, v24
	s_lshl_b64 s[46:47], s[40:41], 1
	v_addc_co_u32_e32 v25, vcc, v26, v25, vcc
	s_add_u32 s41, s57, s66
	v_lshlrev_b64 v[8:9], 1, v[8:9]
	v_bfe_u32 v31, v111, 3, 1
	s_addc_u32 s49, s49, s67
	v_mov_b32_e32 v27, s65
	v_add_co_u32_e32 v26, vcc, s27, v8
	s_add_u32 s57, s22, s41
	v_addc_co_u32_e32 v27, vcc, v27, v9, vcc
	v_mul_hi_u32_u24_e32 v9, 34, v31
	v_mul_u32_u24_e32 v8, 34, v31
	s_mul_i32 s22, s52, s51
	s_mul_i32 s64, s64, s50
	v_mov_b32_e32 v31, s50
	s_addc_u32 s58, s23, s49
	s_add_i32 s27, s22, s64
	v_mad_u64_u32 v[8:9], s[22:23], s52, v31, v[8:9]
	v_add_u32_e32 v9, s27, v9
	v_mov_b32_e32 v31, s54
	v_add_co_u32_e32 v33, vcc, s15, v8
	v_addc_co_u32_e32 v31, vcc, v9, v31, vcc
	v_mul_lo_u32 v34, s14, v13
	v_ashrrev_i32_e32 v35, 31, v34
	v_add_co_u32_e32 v42, vcc, v33, v34
	v_and_b32_e32 v32, 28, v119
	v_addc_co_u32_e32 v43, vcc, v31, v35, vcc
	v_add_co_u32_e32 v31, vcc, v8, v32
	v_addc_co_u32_e32 v32, vcc, 0, v9, vcc
	v_mov_b32_e32 v33, s54
	v_add_co_u32_e32 v36, vcc, s15, v31
	v_addc_co_u32_e32 v33, vcc, v32, v33, vcc
	v_add_co_u32_e32 v46, vcc, v36, v34
	v_addc_co_u32_e32 v47, vcc, v33, v35, vcc
	v_add_u32_e32 v35, 30, v13
	v_mul_lo_u32 v35, s14, v35
	v_ashrrev_i32_e32 v36, 31, v35
	v_add_co_u32_e32 v52, vcc, v31, v35
	v_addc_co_u32_e32 v53, vcc, v32, v36, vcc
	v_add_co_u32_e32 v54, vcc, v8, v35
	v_add_u32_e32 v35, 28, v13
	v_addc_co_u32_e32 v55, vcc, v9, v36, vcc
	v_mul_lo_u32 v35, s14, v35
	v_ashrrev_i32_e32 v36, 31, v35
	v_add_co_u32_e32 v56, vcc, v31, v35
	v_addc_co_u32_e32 v57, vcc, v32, v36, vcc
	v_add_u32_e32 v37, 26, v13
	v_add_co_u32_e32 v66, vcc, v8, v35
	v_mul_lo_u32 v37, s14, v37
	v_addc_co_u32_e32 v67, vcc, v9, v36, vcc
	v_ashrrev_i32_e32 v58, 31, v37
	v_add_co_u32_e32 v68, vcc, v31, v37
	v_addc_co_u32_e32 v69, vcc, v32, v58, vcc
	v_add_u32_e32 v38, 24, v13
	v_add_co_u32_e32 v70, vcc, v8, v37
	v_mul_lo_u32 v38, s14, v38
	v_addc_co_u32_e32 v71, vcc, v9, v58, vcc
	;; [unrolled: 7-line block ×12, first 2 shown]
	v_ashrrev_i32_e32 v34, 31, v33
	v_add_u32_e32 v13, 4, v13
	v_add_co_u32_e32 v50, vcc, v8, v33
	v_mul_lo_u32 v13, s14, v13
	v_addc_co_u32_e32 v51, vcc, v9, v34, vcc
	v_ashrrev_i32_e32 v38, 31, v13
	v_add_co_u32_e32 v113, vcc, v8, v13
	v_addc_co_u32_e32 v114, vcc, v9, v38, vcc
	v_add_co_u32_e32 v115, vcc, v31, v13
	v_mul_lo_u32 v48, v10, s48
	v_addc_co_u32_e32 v130, vcc, v32, v38, vcc
	v_add_u32_e32 v40, s48, v48
	v_add_co_u32_e32 v131, vcc, v31, v33
	v_mov_b32_e32 v13, 0
	v_add_u32_e32 v36, s48, v40
	v_mov_b32_e32 v8, s12
	v_addc_co_u32_e32 v132, vcc, v32, v34, vcc
	v_add_u32_e32 v32, s48, v36
	v_mad_u64_u32 v[8:9], s[22:23], s52, v8, v[12:13]
	v_ashrrev_i32_e32 v33, 31, v32
	v_add_u32_e32 v9, s59, v9
	v_lshlrev_b32_e32 v124, 2, v11
	v_add_co_u32_e32 v11, vcc, v8, v32
	v_lshlrev_b32_e32 v125, 2, v22
	v_addc_co_u32_e32 v22, vcc, v9, v33, vcc
	v_lshlrev_b32_e32 v126, 2, v23
	v_lshlrev_b32_e32 v129, 1, v30
	v_mov_b32_e32 v23, s61
	v_add_co_u32_e32 v30, vcc, s60, v11
	v_addc_co_u32_e32 v31, vcc, v23, v22, vcc
	v_mov_b32_e32 v11, s63
	v_add_co_u32_e32 v32, vcc, s62, v32
	v_addc_co_u32_e32 v33, vcc, v11, v33, vcc
	v_ashrrev_i32_e32 v37, 31, v36
	v_add_co_u32_e32 v11, vcc, v8, v36
	v_addc_co_u32_e32 v22, vcc, v9, v37, vcc
	v_add_co_u32_e32 v34, vcc, s60, v11
	v_addc_co_u32_e32 v35, vcc, v23, v22, vcc
	v_mov_b32_e32 v11, s63
	v_add_co_u32_e32 v36, vcc, s62, v36
	v_addc_co_u32_e32 v37, vcc, v11, v37, vcc
	v_mov_b32_e32 v38, s56
	v_add_co_u32_e32 v11, vcc, s55, v8
	v_addc_co_u32_e32 v22, vcc, v9, v38, vcc
	v_ashrrev_i32_e32 v41, 31, v40
	v_add_co_u32_e32 v8, vcc, v8, v40
	v_addc_co_u32_e32 v9, vcc, v9, v41, vcc
	v_add_co_u32_e32 v38, vcc, s60, v8
	v_addc_co_u32_e32 v39, vcc, v23, v9, vcc
	v_mov_b32_e32 v8, s63
	v_add_co_u32_e32 v40, vcc, s62, v40
	v_addc_co_u32_e32 v41, vcc, v8, v41, vcc
	v_mov_b32_e32 v8, s21
	v_add_co_u32_e32 v42, vcc, s20, v42
	v_addc_co_u32_e32 v43, vcc, v8, v43, vcc
	v_ashrrev_i32_e32 v8, 31, v48
	v_add_co_u32_e32 v9, vcc, v11, v48
	v_addc_co_u32_e32 v11, vcc, v22, v8, vcc
	v_mov_b32_e32 v22, s19
	v_add_co_u32_e32 v44, vcc, s18, v9
	s_add_u32 s12, s53, s55
	v_addc_co_u32_e32 v45, vcc, v22, v11, vcc
	s_addc_u32 s13, s13, s56
	v_mov_b32_e32 v9, s21
	v_add_co_u32_e32 v46, vcc, s20, v46
	s_add_u32 s12, s18, s12
	v_addc_co_u32_e32 v47, vcc, v9, v47, vcc
	s_addc_u32 s13, s19, s13
	;; [unrolled: 5-line block ×3, first 2 shown]
	v_mov_b32_e32 v8, s13
	v_add_co_u32_e32 v50, vcc, s12, v50
	v_addc_co_u32_e32 v51, vcc, v8, v51, vcc
	v_add_co_u32_e32 v52, vcc, s12, v52
	v_addc_co_u32_e32 v53, vcc, v8, v53, vcc
	;; [unrolled: 2-line block ×29, first 2 shown]
	v_add_co_u32_e32 v108, vcc, s12, v131
	v_lshlrev_b32_e32 v10, 1, v10
	v_addc_co_u32_e32 v109, vcc, v8, v132, vcc
	v_add_co_u32_e32 v110, vcc, s57, v10
	ds_read_b128 v[8:11], v120
	v_lshlrev_b32_e32 v127, 2, v28
	v_mov_b32_e32 v28, 0xfeffffff
	v_add_f32_e32 v130, v1, v1
	v_mov_b32_e32 v1, s58
	s_mul_i32 s22, s26, s14
	s_mul_i32 s23, s26, s48
	s_mov_b32 s27, s39
	s_mul_i32 s41, s40, s48
	s_mov_b32 s48, s39
	;; [unrolled: 2-line block ×3, first 2 shown]
	v_lshlrev_b32_e32 v128, 2, v29
	s_mov_b32 s51, 0x1000706
	s_mov_b32 s53, 0x3fb8aa3b
	;; [unrolled: 1-line block ×4, first 2 shown]
	v_mov_b32_e32 v22, v13
	v_mov_b32_e32 v23, v13
	;; [unrolled: 1-line block ×3, first 2 shown]
	v_or_b32_e32 v13, 16, v12
	v_add_f32_e32 v3, v3, v3
	v_add_f32_e32 v5, v5, v5
	;; [unrolled: 1-line block ×3, first 2 shown]
	v_addc_co_u32_e32 v1, vcc, 0, v1, vcc
	v_mov_b32_e32 v131, 0x7f800000
                                        ; implicit-def: $vgpr112
	s_branch .LBB9_28
.LBB9_27:                               ;   in Loop: Header=BB9_28 Depth=1
	v_add_f32_e32 v137, 0x40051340, v114
	v_add_f32_e32 v139, 0x40051340, v132
	v_max3_f32 v137, v28, v137, v139
	v_add_f32_e32 v139, 0x40051340, v134
	v_add_f32_e32 v140, 0x40051340, v138
	v_max3_f32 v137, v137, v139, v140
	v_cndmask_b32_e64 v114, v112, v114, s[2:3]
	v_cndmask_b32_e64 v139, v113, v115, s[2:3]
	v_add_f32_e32 v112, 0x40051340, v115
	v_add_f32_e32 v113, 0x40051340, v133
	v_max3_f32 v115, v29, v112, v113
	v_mov_b32_e32 v112, v28
	v_mov_b32_e32 v113, v29
	v_add_f32_e32 v28, 0x40051340, v135
	v_add_f32_e32 v29, 0x40051340, v136
	v_max3_f32 v28, v115, v28, v29
	v_cndmask_b32_e64 v29, v139, v133, s[4:5]
	v_cndmask_b32_e64 v29, v29, v135, s[16:17]
	;; [unrolled: 1-line block ×3, first 2 shown]
	ds_bpermute_b32 v29, v126, v28
	v_cndmask_b32_e64 v114, v114, v132, s[4:5]
	v_cndmask_b32_e64 v114, v114, v134, s[16:17]
	;; [unrolled: 1-line block ×3, first 2 shown]
	s_add_i32 s26, s26, s40
	s_waitcnt lgkmcnt(0)
	v_max_f32_e32 v29, v29, v29
	v_max_f32_e32 v28, v28, v29
	ds_bpermute_b32 v29, v126, v137
	ds_bpermute_b32 v132, v127, v28
	s_cmp_ge_i32 s26, s37
	s_waitcnt lgkmcnt(1)
	v_max_f32_e32 v29, v29, v29
	v_max_f32_e32 v29, v137, v29
	s_waitcnt lgkmcnt(0)
	v_max_f32_e32 v132, v132, v132
	v_max_f32_e32 v28, v28, v132
	ds_bpermute_b32 v132, v127, v29
	s_waitcnt lgkmcnt(0)
	v_max_f32_e32 v132, v132, v132
	v_max_f32_e32 v132, v29, v132
	ds_bpermute_b32 v29, v128, v28
	;; [unrolled: 4-line block ×3, first 2 shown]
	s_waitcnt lgkmcnt(0)
	v_max_f32_e32 v28, v28, v28
	v_max_f32_e32 v28, v132, v28
	v_pk_add_f32 v[114:115], v[114:115], v[28:29] neg_lo:[0,1] neg_hi:[0,1]
	v_mul_f32_e32 v132, 0x3fb8aa3b, v115
	v_fma_f32 v133, v115, s53, -v132
	v_rndne_f32_e32 v134, v132
	v_fmac_f32_e32 v133, 0x32a5705f, v115
	v_sub_f32_e32 v132, v132, v134
	v_add_f32_e32 v132, v132, v133
	v_exp_f32_e32 v132, v132
	v_cvt_i32_f32_e32 v133, v134
	v_cmp_ngt_f32_e32 vcc, s54, v115
	v_cmp_ngt_f32_e64 s[12:13], s54, v114
	v_pk_add_f32 v[112:113], v[112:113], v[28:29] neg_lo:[0,1] neg_hi:[0,1]
	v_ldexp_f32 v132, v132, v133
	v_mul_f32_e32 v133, 0x3fb8aa3b, v114
	v_fma_f32 v134, v114, s53, -v133
	v_rndne_f32_e32 v135, v133
	v_fmac_f32_e32 v134, 0x32a5705f, v114
	v_sub_f32_e32 v133, v133, v135
	v_add_f32_e32 v133, v133, v134
	v_exp_f32_e32 v133, v133
	v_cvt_i32_f32_e32 v134, v135
	v_cmp_ngt_f32_e64 s[18:19], s54, v112
	v_cmp_ngt_f32_e64 s[14:15], s54, v113
	v_ldexp_f32 v133, v133, v134
	v_cndmask_b32_e32 v134, 0, v132, vcc
	v_cmp_nlt_f32_e32 vcc, s55, v115
	v_cndmask_b32_e64 v115, 0, v133, s[12:13]
	v_cmp_nlt_f32_e64 s[12:13], s55, v114
	v_mul_f32_e32 v114, 0x3fb8aa3b, v113
	v_fma_f32 v132, v113, s53, -v114
	v_rndne_f32_e32 v133, v114
	v_fmac_f32_e32 v132, 0x32a5705f, v113
	v_sub_f32_e32 v114, v114, v133
	v_add_f32_e32 v114, v114, v132
	v_exp_f32_e32 v114, v114
	v_cvt_i32_f32_e32 v132, v133
	v_ldexp_f32 v114, v114, v132
	v_mul_f32_e32 v132, 0x3fb8aa3b, v112
	v_fma_f32 v133, v112, s53, -v132
	v_rndne_f32_e32 v135, v132
	v_fmac_f32_e32 v133, 0x32a5705f, v112
	v_sub_f32_e32 v132, v132, v135
	v_add_f32_e32 v132, v132, v133
	v_exp_f32_e32 v132, v132
	v_cvt_i32_f32_e32 v133, v135
	v_cndmask_b32_e64 v114, 0, v114, s[14:15]
	v_cmp_nlt_f32_e64 s[14:15], s55, v113
	v_ldexp_f32 v132, v132, v133
	v_cndmask_b32_e64 v133, 0, v132, s[18:19]
	v_cmp_nlt_f32_e64 s[18:19], s55, v112
	v_mov_b32_e32 v132, s39
	v_add_co_u32_e64 v112, s[20:21], s22, v46
	v_addc_co_u32_e64 v113, s[20:21], v47, v132, s[20:21]
	global_load_dword v135, v[112:113], off offset:2
	v_add_co_u32_e64 v112, s[20:21], s22, v42
	v_addc_co_u32_e64 v113, s[20:21], v43, v132, s[20:21]
	global_load_ushort v136, v[112:113], off
	v_cndmask_b32_e64 v112, v131, v115, s[12:13]
	v_cvt_f16_f32_e32 v115, v112
	v_cndmask_b32_e32 v113, v131, v134, vcc
	ds_write_b16 v118, v115
	v_cndmask_b32_e64 v115, v131, v114, s[14:15]
	v_cndmask_b32_e64 v114, v131, v133, s[18:19]
	v_cvt_f16_f32_e32 v133, v113
	v_pk_fma_f32 v[22:23], v[22:23], v[114:115], v[112:113]
	ds_write_b16 v118, v133 offset:256
	s_waitcnt vmcnt(1)
	v_cvt_f16_i16_sdwa v133, sext(v135) dst_sel:DWORD dst_unused:UNUSED_PAD src0_sel:BYTE_0
	v_cvt_f16_i16_sdwa v134, sext(v135) dst_sel:DWORD dst_unused:UNUSED_PAD src0_sel:BYTE_1
	v_pack_b32_f16 v133, v133, v134
	v_lshrrev_b32_e32 v134, 16, v135
	v_cvt_f16_i16_sdwa v135, sext(v134) dst_sel:DWORD dst_unused:UNUSED_PAD src0_sel:BYTE_0
	v_cvt_f16_i16_sdwa v134, sext(v134) dst_sel:DWORD dst_unused:UNUSED_PAD src0_sel:BYTE_1
	v_pack_b32_f16 v134, v135, v134
	v_cvt_f16_f32_e32 v135, v114
	s_waitcnt vmcnt(0)
	v_pk_mul_f16 v133, v133, v136 op_sel_hi:[1,0]
	v_pk_mul_f16 v134, v136, v134 op_sel_hi:[0,1]
	ds_read_u16 v136, v129
	ds_read_u16 v137, v129 offset:4
	ds_read_u16 v138, v129 offset:8
	;; [unrolled: 1-line block ×7, first 2 shown]
	s_waitcnt lgkmcnt(7)
	v_pk_mul_f16 v144, v133, v136 op_sel_hi:[1,0]
	v_pk_fma_f16 v144, v135, v8, v144 op_sel_hi:[0,1,1]
	v_pk_mul_f16 v8, v134, v136 op_sel_hi:[1,0]
	v_pk_fma_f16 v135, v135, v9, v8 op_sel_hi:[0,1,1]
	ds_read_u16 v136, v123 offset:12
	ds_read_u16 v145, v123 offset:20
	;; [unrolled: 1-line block ×7, first 2 shown]
	s_waitcnt lgkmcnt(4)
	v_pk_mul_f16 v9, v133, v8 op_sel_hi:[1,0]
	v_cvt_f16_f32_e32 v133, v115
	v_pk_mul_f16 v8, v134, v8 op_sel_hi:[1,0]
	v_mov_b32_e32 v114, s47
	v_pk_fma_f16 v11, v133, v11, v8 op_sel_hi:[0,1,1]
	v_add_co_u32_e32 v8, vcc, s22, v108
	v_pk_fma_f16 v10, v133, v10, v9 op_sel_hi:[0,1,1]
	v_addc_co_u32_e32 v9, vcc, v109, v132, vcc
	global_load_dword v133, v[8:9], off offset:2
	v_add_co_u32_e32 v8, vcc, s22, v50
	v_addc_co_u32_e32 v9, vcc, v51, v132, vcc
	global_load_ushort v8, v[8:9], off
	s_waitcnt vmcnt(1)
	v_cvt_f16_i16_sdwa v9, sext(v133) dst_sel:DWORD dst_unused:UNUSED_PAD src0_sel:BYTE_0
	v_cvt_f16_i16_sdwa v134, sext(v133) dst_sel:DWORD dst_unused:UNUSED_PAD src0_sel:BYTE_1
	v_lshrrev_b32_e32 v133, 16, v133
	v_pack_b32_f16 v9, v9, v134
	v_cvt_f16_i16_sdwa v134, sext(v133) dst_sel:DWORD dst_unused:UNUSED_PAD src0_sel:BYTE_0
	v_cvt_f16_i16_sdwa v133, sext(v133) dst_sel:DWORD dst_unused:UNUSED_PAD src0_sel:BYTE_1
	v_pack_b32_f16 v133, v134, v133
	s_waitcnt vmcnt(0)
	v_pk_mul_f16 v9, v9, v8 op_sel_hi:[1,0]
	v_pk_mul_f16 v8, v8, v133 op_sel_hi:[0,1]
	v_pk_fma_f16 v134, v8, v137, v135 op_sel_hi:[1,0,1]
	s_waitcnt lgkmcnt(0)
	v_pk_fma_f16 v11, v8, v149, v11 op_sel_hi:[1,0,1]
	v_add_co_u32_e32 v8, vcc, s22, v104
	v_pk_fma_f16 v133, v9, v137, v144 op_sel_hi:[1,0,1]
	v_pk_fma_f16 v10, v9, v149, v10 op_sel_hi:[1,0,1]
	v_addc_co_u32_e32 v9, vcc, v105, v132, vcc
	global_load_dword v135, v[8:9], off offset:2
	v_add_co_u32_e32 v8, vcc, s22, v106
	v_addc_co_u32_e32 v9, vcc, v107, v132, vcc
	global_load_ushort v8, v[8:9], off
	s_waitcnt vmcnt(1)
	v_cvt_f16_i16_sdwa v9, sext(v135) dst_sel:DWORD dst_unused:UNUSED_PAD src0_sel:BYTE_0
	v_cvt_f16_i16_sdwa v137, sext(v135) dst_sel:DWORD dst_unused:UNUSED_PAD src0_sel:BYTE_1
	v_lshrrev_b32_e32 v135, 16, v135
	v_pack_b32_f16 v9, v9, v137
	v_cvt_f16_i16_sdwa v137, sext(v135) dst_sel:DWORD dst_unused:UNUSED_PAD src0_sel:BYTE_0
	v_cvt_f16_i16_sdwa v135, sext(v135) dst_sel:DWORD dst_unused:UNUSED_PAD src0_sel:BYTE_1
	v_pack_b32_f16 v135, v137, v135
	s_waitcnt vmcnt(0)
	v_pk_mul_f16 v9, v9, v8 op_sel_hi:[1,0]
	v_pk_mul_f16 v8, v8, v135 op_sel_hi:[0,1]
	ds_read_u16 v135, v123 offset:8
	v_pk_fma_f16 v134, v8, v138, v134 op_sel_hi:[1,0,1]
	v_pk_fma_f16 v133, v9, v138, v133 op_sel_hi:[1,0,1]
	s_waitcnt lgkmcnt(0)
	v_pk_fma_f16 v11, v8, v135, v11 op_sel_hi:[1,0,1]
	v_add_co_u32_e32 v8, vcc, s22, v100
	v_pk_fma_f16 v10, v9, v135, v10 op_sel_hi:[1,0,1]
	v_addc_co_u32_e32 v9, vcc, v101, v132, vcc
	global_load_dword v135, v[8:9], off offset:2
	v_add_co_u32_e32 v8, vcc, s22, v102
	v_addc_co_u32_e32 v9, vcc, v103, v132, vcc
	global_load_ushort v8, v[8:9], off
	s_waitcnt vmcnt(1)
	v_cvt_f16_i16_sdwa v9, sext(v135) dst_sel:DWORD dst_unused:UNUSED_PAD src0_sel:BYTE_0
	v_cvt_f16_i16_sdwa v137, sext(v135) dst_sel:DWORD dst_unused:UNUSED_PAD src0_sel:BYTE_1
	v_lshrrev_b32_e32 v135, 16, v135
	v_pack_b32_f16 v9, v9, v137
	v_cvt_f16_i16_sdwa v137, sext(v135) dst_sel:DWORD dst_unused:UNUSED_PAD src0_sel:BYTE_0
	v_cvt_f16_i16_sdwa v135, sext(v135) dst_sel:DWORD dst_unused:UNUSED_PAD src0_sel:BYTE_1
	v_pack_b32_f16 v135, v137, v135
	s_waitcnt vmcnt(0)
	v_pk_mul_f16 v9, v9, v8 op_sel_hi:[1,0]
	v_pk_mul_f16 v8, v8, v135 op_sel_hi:[0,1]
	v_pk_fma_f16 v134, v8, v139, v134 op_sel_hi:[1,0,1]
	v_pk_fma_f16 v11, v8, v136, v11 op_sel_hi:[1,0,1]
	v_add_co_u32_e32 v8, vcc, s22, v96
	v_pk_fma_f16 v133, v9, v139, v133 op_sel_hi:[1,0,1]
	v_pk_fma_f16 v10, v9, v136, v10 op_sel_hi:[1,0,1]
	v_addc_co_u32_e32 v9, vcc, v97, v132, vcc
	global_load_dword v135, v[8:9], off offset:2
	v_add_co_u32_e32 v8, vcc, s22, v98
	v_addc_co_u32_e32 v9, vcc, v99, v132, vcc
	global_load_ushort v8, v[8:9], off
	s_waitcnt vmcnt(1)
	v_cvt_f16_i16_sdwa v9, sext(v135) dst_sel:DWORD dst_unused:UNUSED_PAD src0_sel:BYTE_0
	v_cvt_f16_i16_sdwa v136, sext(v135) dst_sel:DWORD dst_unused:UNUSED_PAD src0_sel:BYTE_1
	v_lshrrev_b32_e32 v135, 16, v135
	v_pack_b32_f16 v9, v9, v136
	v_cvt_f16_i16_sdwa v136, sext(v135) dst_sel:DWORD dst_unused:UNUSED_PAD src0_sel:BYTE_0
	v_cvt_f16_i16_sdwa v135, sext(v135) dst_sel:DWORD dst_unused:UNUSED_PAD src0_sel:BYTE_1
	v_pack_b32_f16 v135, v136, v135
	s_waitcnt vmcnt(0)
	v_pk_mul_f16 v9, v9, v8 op_sel_hi:[1,0]
	v_pk_mul_f16 v8, v8, v135 op_sel_hi:[0,1]
	v_pk_fma_f16 v134, v8, v140, v134 op_sel_hi:[1,0,1]
	v_pk_fma_f16 v11, v8, v146, v11 op_sel_hi:[1,0,1]
	v_add_co_u32_e32 v8, vcc, s22, v92
	v_pk_fma_f16 v133, v9, v140, v133 op_sel_hi:[1,0,1]
	;; [unrolled: 21-line block ×3, first 2 shown]
	v_pk_fma_f16 v10, v9, v145, v10 op_sel_hi:[1,0,1]
	v_addc_co_u32_e32 v9, vcc, v89, v132, vcc
	global_load_dword v135, v[8:9], off offset:2
	v_add_co_u32_e32 v8, vcc, s22, v90
	v_addc_co_u32_e32 v9, vcc, v91, v132, vcc
	global_load_ushort v8, v[8:9], off
	s_waitcnt vmcnt(1)
	v_cvt_f16_i16_sdwa v9, sext(v135) dst_sel:DWORD dst_unused:UNUSED_PAD src0_sel:BYTE_0
	v_cvt_f16_i16_sdwa v136, sext(v135) dst_sel:DWORD dst_unused:UNUSED_PAD src0_sel:BYTE_1
	v_lshrrev_b32_e32 v135, 16, v135
	v_pack_b32_f16 v9, v9, v136
	v_cvt_f16_i16_sdwa v136, sext(v135) dst_sel:DWORD dst_unused:UNUSED_PAD src0_sel:BYTE_0
	v_cvt_f16_i16_sdwa v135, sext(v135) dst_sel:DWORD dst_unused:UNUSED_PAD src0_sel:BYTE_1
	v_pack_b32_f16 v135, v136, v135
	s_waitcnt vmcnt(0)
	v_pk_mul_f16 v9, v9, v8 op_sel_hi:[1,0]
	v_pk_mul_f16 v8, v8, v135 op_sel_hi:[0,1]
	ds_read_u16 v135, v123 offset:24
	ds_read_u16 v136, v123 offset:28
	;; [unrolled: 1-line block ×8, first 2 shown]
	v_pk_fma_f16 v134, v8, v142, v134 op_sel_hi:[1,0,1]
	s_waitcnt lgkmcnt(7)
	v_pk_fma_f16 v11, v8, v135, v11 op_sel_hi:[1,0,1]
	v_add_co_u32_e32 v8, vcc, s22, v84
	v_pk_fma_f16 v133, v9, v142, v133 op_sel_hi:[1,0,1]
	v_pk_fma_f16 v10, v9, v135, v10 op_sel_hi:[1,0,1]
	v_addc_co_u32_e32 v9, vcc, v85, v132, vcc
	global_load_dword v135, v[8:9], off offset:2
	v_add_co_u32_e32 v8, vcc, s22, v86
	v_addc_co_u32_e32 v9, vcc, v87, v132, vcc
	global_load_ushort v8, v[8:9], off
	s_waitcnt vmcnt(1)
	v_cvt_f16_i16_sdwa v9, sext(v135) dst_sel:DWORD dst_unused:UNUSED_PAD src0_sel:BYTE_0
	v_cvt_f16_i16_sdwa v142, sext(v135) dst_sel:DWORD dst_unused:UNUSED_PAD src0_sel:BYTE_1
	v_lshrrev_b32_e32 v135, 16, v135
	v_pack_b32_f16 v9, v9, v142
	v_cvt_f16_i16_sdwa v142, sext(v135) dst_sel:DWORD dst_unused:UNUSED_PAD src0_sel:BYTE_0
	v_cvt_f16_i16_sdwa v135, sext(v135) dst_sel:DWORD dst_unused:UNUSED_PAD src0_sel:BYTE_1
	v_pack_b32_f16 v135, v142, v135
	s_waitcnt vmcnt(0)
	v_pk_mul_f16 v9, v9, v8 op_sel_hi:[1,0]
	v_pk_mul_f16 v8, v8, v135 op_sel_hi:[0,1]
	v_pk_fma_f16 v134, v8, v143, v134 op_sel_hi:[1,0,1]
	s_waitcnt lgkmcnt(6)
	v_pk_fma_f16 v11, v8, v136, v11 op_sel_hi:[1,0,1]
	v_add_co_u32_e32 v8, vcc, s22, v80
	v_pk_fma_f16 v133, v9, v143, v133 op_sel_hi:[1,0,1]
	v_pk_fma_f16 v10, v9, v136, v10 op_sel_hi:[1,0,1]
	v_addc_co_u32_e32 v9, vcc, v81, v132, vcc
	global_load_dword v135, v[8:9], off offset:2
	v_add_co_u32_e32 v8, vcc, s22, v82
	v_addc_co_u32_e32 v9, vcc, v83, v132, vcc
	global_load_ushort v8, v[8:9], off
	s_waitcnt vmcnt(1)
	v_cvt_f16_i16_sdwa v9, sext(v135) dst_sel:DWORD dst_unused:UNUSED_PAD src0_sel:BYTE_0
	v_cvt_f16_i16_sdwa v136, sext(v135) dst_sel:DWORD dst_unused:UNUSED_PAD src0_sel:BYTE_1
	v_lshrrev_b32_e32 v135, 16, v135
	v_pack_b32_f16 v9, v9, v136
	v_cvt_f16_i16_sdwa v136, sext(v135) dst_sel:DWORD dst_unused:UNUSED_PAD src0_sel:BYTE_0
	v_cvt_f16_i16_sdwa v135, sext(v135) dst_sel:DWORD dst_unused:UNUSED_PAD src0_sel:BYTE_1
	v_pack_b32_f16 v135, v136, v135
	s_waitcnt vmcnt(0)
	v_pk_mul_f16 v9, v9, v8 op_sel_hi:[1,0]
	v_pk_mul_f16 v8, v8, v135 op_sel_hi:[0,1]
	ds_read_u16 v135, v129 offset:32
	ds_read_u16 v136, v129 offset:36
	;; [unrolled: 1-line block ×8, first 2 shown]
	s_waitcnt lgkmcnt(7)
	v_pk_fma_f16 v134, v8, v135, v134 op_sel_hi:[1,0,1]
	v_pk_fma_f16 v11, v8, v147, v11 op_sel_hi:[1,0,1]
	v_add_co_u32_e32 v8, vcc, s22, v76
	v_pk_fma_f16 v133, v9, v135, v133 op_sel_hi:[1,0,1]
	v_pk_fma_f16 v10, v9, v147, v10 op_sel_hi:[1,0,1]
	v_addc_co_u32_e32 v9, vcc, v77, v132, vcc
	global_load_dword v135, v[8:9], off offset:2
	v_add_co_u32_e32 v8, vcc, s22, v78
	v_addc_co_u32_e32 v9, vcc, v79, v132, vcc
	global_load_ushort v8, v[8:9], off
	s_waitcnt vmcnt(1)
	v_cvt_f16_i16_sdwa v9, sext(v135) dst_sel:DWORD dst_unused:UNUSED_PAD src0_sel:BYTE_0
	v_cvt_f16_i16_sdwa v147, sext(v135) dst_sel:DWORD dst_unused:UNUSED_PAD src0_sel:BYTE_1
	v_lshrrev_b32_e32 v135, 16, v135
	v_pack_b32_f16 v9, v9, v147
	v_cvt_f16_i16_sdwa v147, sext(v135) dst_sel:DWORD dst_unused:UNUSED_PAD src0_sel:BYTE_0
	v_cvt_f16_i16_sdwa v135, sext(v135) dst_sel:DWORD dst_unused:UNUSED_PAD src0_sel:BYTE_1
	v_pack_b32_f16 v135, v147, v135
	s_waitcnt vmcnt(0)
	v_pk_mul_f16 v9, v9, v8 op_sel_hi:[1,0]
	v_pk_mul_f16 v8, v8, v135 op_sel_hi:[0,1]
	s_waitcnt lgkmcnt(6)
	v_pk_fma_f16 v134, v8, v136, v134 op_sel_hi:[1,0,1]
	v_pk_fma_f16 v11, v8, v137, v11 op_sel_hi:[1,0,1]
	v_add_co_u32_e32 v8, vcc, s22, v72
	v_pk_fma_f16 v133, v9, v136, v133 op_sel_hi:[1,0,1]
	v_pk_fma_f16 v10, v9, v137, v10 op_sel_hi:[1,0,1]
	v_addc_co_u32_e32 v9, vcc, v73, v132, vcc
	global_load_dword v135, v[8:9], off offset:2
	v_add_co_u32_e32 v8, vcc, s22, v74
	v_addc_co_u32_e32 v9, vcc, v75, v132, vcc
	global_load_ushort v8, v[8:9], off
	s_waitcnt vmcnt(1)
	v_cvt_f16_i16_sdwa v9, sext(v135) dst_sel:DWORD dst_unused:UNUSED_PAD src0_sel:BYTE_0
	v_cvt_f16_i16_sdwa v136, sext(v135) dst_sel:DWORD dst_unused:UNUSED_PAD src0_sel:BYTE_1
	v_lshrrev_b32_e32 v135, 16, v135
	v_pack_b32_f16 v9, v9, v136
	v_cvt_f16_i16_sdwa v136, sext(v135) dst_sel:DWORD dst_unused:UNUSED_PAD src0_sel:BYTE_0
	v_cvt_f16_i16_sdwa v135, sext(v135) dst_sel:DWORD dst_unused:UNUSED_PAD src0_sel:BYTE_1
	v_pack_b32_f16 v135, v136, v135
	s_waitcnt vmcnt(0)
	v_pk_mul_f16 v9, v9, v8 op_sel_hi:[1,0]
	v_pk_mul_f16 v8, v8, v135 op_sel_hi:[0,1]
	;; [unrolled: 22-line block ×6, first 2 shown]
	s_waitcnt lgkmcnt(1)
	v_pk_fma_f16 v134, v8, v149, v134 op_sel_hi:[1,0,1]
	v_pk_fma_f16 v11, v8, v141, v11 op_sel_hi:[1,0,1]
	v_add_co_u32_e32 v8, vcc, s22, v52
	v_pk_fma_f16 v133, v9, v149, v133 op_sel_hi:[1,0,1]
	v_pk_fma_f16 v10, v9, v141, v10 op_sel_hi:[1,0,1]
	v_addc_co_u32_e32 v9, vcc, v53, v132, vcc
	global_load_dword v135, v[8:9], off offset:2
	v_add_co_u32_e32 v8, vcc, s22, v54
	v_addc_co_u32_e32 v9, vcc, v55, v132, vcc
	global_load_ushort v9, v[8:9], off
	v_add_co_u32_e32 v24, vcc, s46, v24
	v_addc_co_u32_e32 v25, vcc, v25, v114, vcc
	v_add_co_u32_e32 v110, vcc, s46, v110
	v_addc_co_u32_e32 v1, vcc, v1, v114, vcc
	;; [unrolled: 2-line block ×3, first 2 shown]
	v_mov_b32_e32 v114, s48
	v_add_co_u32_e32 v30, vcc, s41, v30
	v_addc_co_u32_e32 v31, vcc, v31, v114, vcc
	v_add_co_u32_e32 v32, vcc, s41, v32
	v_addc_co_u32_e32 v33, vcc, v33, v114, vcc
	;; [unrolled: 2-line block ×8, first 2 shown]
	v_mov_b32_e32 v114, s50
	v_add_co_u32_e32 v42, vcc, s49, v42
	v_addc_co_u32_e32 v43, vcc, v43, v114, vcc
	v_add_co_u32_e32 v46, vcc, s49, v46
	v_addc_co_u32_e32 v47, vcc, v47, v114, vcc
	;; [unrolled: 2-line block ×28, first 2 shown]
	s_waitcnt vmcnt(1)
	v_cvt_f16_i16_sdwa v8, sext(v135) dst_sel:DWORD dst_unused:UNUSED_PAD src0_sel:BYTE_0
	v_cvt_f16_i16_sdwa v132, sext(v135) dst_sel:DWORD dst_unused:UNUSED_PAD src0_sel:BYTE_1
	v_add_co_u32_e32 v102, vcc, s49, v102
	v_pack_b32_f16 v8, v8, v132
	v_addc_co_u32_e32 v103, vcc, v103, v114, vcc
	s_waitcnt vmcnt(0)
	v_pk_mul_f16 v132, v8, v9 op_sel_hi:[1,0]
	v_add_co_u32_e32 v104, vcc, s49, v104
	s_waitcnt lgkmcnt(0)
	v_pk_fma_f16 v8, v132, v150, v133 op_sel_hi:[1,0,1]
	v_pk_fma_f16 v10, v132, v144, v10 op_sel_hi:[1,0,1]
	v_lshrrev_b32_e32 v132, 16, v135
	v_addc_co_u32_e32 v105, vcc, v105, v114, vcc
	v_cvt_f16_i16_sdwa v133, sext(v132) dst_sel:DWORD dst_unused:UNUSED_PAD src0_sel:BYTE_0
	v_cvt_f16_i16_sdwa v132, sext(v132) dst_sel:DWORD dst_unused:UNUSED_PAD src0_sel:BYTE_1
	v_add_co_u32_e32 v106, vcc, s49, v106
	v_pack_b32_f16 v132, v133, v132
	v_addc_co_u32_e32 v107, vcc, v107, v114, vcc
	v_pk_mul_f16 v132, v9, v132 op_sel_hi:[0,1]
	v_add_co_u32_e32 v108, vcc, s49, v108
	v_pk_fma_f16 v9, v132, v150, v134 op_sel_hi:[1,0,1]
	v_pk_fma_f16 v11, v132, v144, v11 op_sel_hi:[1,0,1]
	v_addc_co_u32_e32 v109, vcc, v109, v114, vcc
	s_cbranch_scc1 .LBB9_44
.LBB9_28:                               ; =>This Inner Loop Header: Depth=1
	v_mov_b32_e32 v114, s27
	v_add_co_u32_e32 v134, vcc, s23, v48
	v_addc_co_u32_e32 v135, vcc, v49, v114, vcc
	v_add_co_u32_e32 v136, vcc, s23, v44
	v_addc_co_u32_e32 v137, vcc, v45, v114, vcc
	global_load_dword v115, v[134:135], off
	global_load_ushort v114, v[134:135], off offset:4
	global_load_dword v133, v[136:137], off offset:6
	global_load_dword v132, v[134:135], off offset:22
	s_nop 0
	global_load_ushort v134, v[134:135], off offset:26
	s_nop 0
	global_load_dword v135, v[136:137], off offset:28
	v_mov_b32_e32 v137, 0
	v_mov_b32_e32 v138, 0
	;; [unrolled: 1-line block ×4, first 2 shown]
	s_and_b64 vcc, exec, s[42:43]
	s_waitcnt vmcnt(4)
	v_perm_b32 v114, v115, v114, s51
	v_ashrrev_i32_e32 v142, v12, v114
	v_ashrrev_i32_e32 v114, v13, v114
	s_waitcnt vmcnt(1)
	v_perm_b32 v134, v132, v134, s51
	v_lshlrev_b32_e32 v144, 4, v142
	v_lshlrev_b32_e32 v145, 11, v142
	;; [unrolled: 1-line block ×4, first 2 shown]
	v_and_b32_e32 v136, 0xf0f0f0f, v133
	v_lshrrev_b32_e32 v133, 4, v133
	v_ashrrev_i32_e32 v143, v12, v134
	v_ashrrev_i32_e32 v134, v13, v134
	v_lshlrev_b32_e32 v147, 4, v114
	v_lshlrev_b32_e32 v148, 11, v114
	;; [unrolled: 1-line block ×4, first 2 shown]
	v_and_b32_e32 v146, 0x100000, v146
	v_and_b32_e32 v142, 0x10000000, v142
	s_waitcnt vmcnt(0)
	v_and_b32_e32 v141, 0xf0f0f0f, v135
	v_lshrrev_b32_e32 v135, 4, v135
	v_and_b32_e32 v133, 0xf0f0f0f, v133
	v_lshlrev_b32_e32 v150, 4, v143
	v_lshlrev_b32_e32 v151, 11, v143
	;; [unrolled: 1-line block ×8, first 2 shown]
	v_and_b32_e32 v144, 16, v144
	v_and_b32_e32 v145, 0x1000, v145
	;; [unrolled: 1-line block ×4, first 2 shown]
	v_or3_b32 v136, v142, v136, v146
	v_and_b32_e32 v135, 0xf0f0f0f, v135
	v_and_b32_e32 v147, 16, v147
	;; [unrolled: 1-line block ×7, first 2 shown]
	v_or3_b32 v114, v114, v133, v149
	v_or3_b32 v136, v136, v144, v145
	v_and_b32_e32 v150, 16, v150
	v_and_b32_e32 v151, 0x1000, v151
	v_or3_b32 v133, v143, v141, v152
	v_or3_b32 v141, v134, v135, v155
	;; [unrolled: 1-line block ×3, first 2 shown]
	v_dot4c_i32_i8_e32 v137, v136, v14
	v_and_b32_e32 v153, 16, v153
	v_and_b32_e32 v154, 0x1000, v154
	v_or3_b32 v134, v133, v150, v151
	v_dot4c_i32_i8_e32 v138, v135, v15
	v_cvt_f32_i32_e32 v114, v137
	v_or3_b32 v133, v141, v153, v154
	v_dot4c_i32_i8_e32 v139, v134, v16
	v_cvt_f32_i32_e32 v137, v138
	v_dot4c_i32_i8_e32 v140, v133, v17
	v_fma_f32 v114, v0, v114, -v130
	v_cvt_f32_i32_e32 v138, v139
	v_fma_f32 v137, v0, v137, -v130
	v_cvt_f32_i32_e32 v139, v140
	v_fma_mix_f32 v114, v114, v115, 0 op_sel_hi:[0,1,0]
	v_fma_f32 v138, v2, v138, -v3
	v_fma_mix_f32 v114, v137, v115, v114 op_sel_hi:[0,1,0]
	v_fma_f32 v139, v2, v139, -v3
	v_fma_mix_f32 v114, v138, v132, v114 op_sel_hi:[0,1,0]
	v_fma_mix_f32 v114, v139, v132, v114 op_sel_hi:[0,1,0]
	ds_bpermute_b32 v137, v124, v114
	s_waitcnt lgkmcnt(0)
	v_add_f32_e32 v114, v114, v137
	ds_bpermute_b32 v137, v125, v114
	s_waitcnt lgkmcnt(0)
	v_add_f32_e32 v114, v114, v137
	s_cbranch_vccz .LBB9_30
; %bb.29:                               ;   in Loop: Header=BB9_28 Depth=1
	v_mov_b32_e32 v137, s38
	v_add_co_u32_e32 v138, vcc, s8, v110
	v_addc_co_u32_e32 v139, vcc, v1, v137, vcc
	global_load_ushort v137, v[138:139], off
	s_waitcnt vmcnt(0)
	v_fma_mix_f32 v114, v121, v137, v114 op_sel_hi:[0,1,0]
.LBB9_30:                               ;   in Loop: Header=BB9_28 Depth=1
	v_mov_b32_e32 v137, 0
	v_dot4c_i32_i8_e32 v137, v136, v18
	v_cvt_f32_f16_e32 v115, v115
	v_cvt_f32_f16_e32 v132, v132
	s_andn2_b64 vcc, exec, s[44:45]
	v_cvt_f32_i32_e32 v136, v137
	v_mov_b32_e32 v137, 0
	v_dot4c_i32_i8_e32 v137, v135, v19
	v_fma_f32 v136, v4, v136, -v5
	v_fma_f32 v136, v136, v115, 0
	s_nop 0
	v_cvt_f32_i32_e32 v135, v137
	v_mov_b32_e32 v137, 0
	v_dot4c_i32_i8_e32 v137, v134, v20
	v_fma_f32 v135, v4, v135, -v5
	v_fmac_f32_e32 v136, v135, v115
	s_nop 0
	v_cvt_f32_i32_e32 v134, v137
	v_mov_b32_e32 v137, 0
	v_dot4c_i32_i8_e32 v137, v133, v21
	v_fma_f32 v115, v6, v134, -v7
	v_fmac_f32_e32 v136, v115, v132
	s_nop 0
	v_cvt_f32_i32_e32 v133, v137
	v_fma_f32 v115, v6, v133, -v7
	v_fmac_f32_e32 v136, v115, v132
	ds_bpermute_b32 v115, v124, v136
	v_cndmask_b32_e64 v133, 0, 1, s[44:45]
	v_cmp_ne_u32_e64 s[12:13], 1, v133
	s_waitcnt lgkmcnt(0)
	v_add_f32_e32 v115, v136, v115
	ds_bpermute_b32 v132, v125, v115
	s_waitcnt lgkmcnt(0)
	v_add_f32_e32 v115, v115, v132
	s_cbranch_vccnz .LBB9_32
; %bb.31:                               ;   in Loop: Header=BB9_28 Depth=1
	v_mov_b32_e32 v133, s38
	v_add_co_u32_e32 v132, vcc, s8, v24
	v_addc_co_u32_e32 v133, vcc, v25, v133, vcc
	global_load_ushort v132, v[132:133], off
	s_waitcnt vmcnt(0)
	v_fma_mix_f32 v115, v121, v132, v115 op_sel_hi:[0,1,0]
.LBB9_32:                               ;   in Loop: Header=BB9_28 Depth=1
	v_mov_b32_e32 v132, s27
	v_add_co_u32_e32 v136, vcc, s23, v40
	v_addc_co_u32_e32 v137, vcc, v41, v132, vcc
	v_add_co_u32_e32 v138, vcc, s23, v38
	v_addc_co_u32_e32 v139, vcc, v39, v132, vcc
	global_load_dword v133, v[136:137], off
	global_load_ushort v132, v[136:137], off offset:4
	global_load_dword v135, v[138:139], off offset:6
	global_load_dword v134, v[136:137], off offset:22
	s_nop 0
	global_load_ushort v136, v[136:137], off offset:26
	s_nop 0
	global_load_dword v137, v[138:139], off offset:28
	v_mov_b32_e32 v139, 0
	v_mov_b32_e32 v140, 0
	;; [unrolled: 1-line block ×4, first 2 shown]
	s_andn2_b64 vcc, exec, s[42:43]
	s_waitcnt vmcnt(4)
	v_perm_b32 v132, v133, v132, s51
	v_ashrrev_i32_e32 v144, v12, v132
	v_ashrrev_i32_e32 v132, v13, v132
	s_waitcnt vmcnt(1)
	v_perm_b32 v136, v134, v136, s51
	v_lshlrev_b32_e32 v146, 4, v144
	v_lshlrev_b32_e32 v147, 11, v144
	;; [unrolled: 1-line block ×4, first 2 shown]
	v_and_b32_e32 v138, 0xf0f0f0f, v135
	v_lshrrev_b32_e32 v135, 4, v135
	v_ashrrev_i32_e32 v145, v12, v136
	v_ashrrev_i32_e32 v136, v13, v136
	v_lshlrev_b32_e32 v149, 4, v132
	v_lshlrev_b32_e32 v150, 11, v132
	;; [unrolled: 1-line block ×4, first 2 shown]
	v_and_b32_e32 v148, 0x100000, v148
	v_and_b32_e32 v144, 0x10000000, v144
	s_waitcnt vmcnt(0)
	v_and_b32_e32 v143, 0xf0f0f0f, v137
	v_lshrrev_b32_e32 v137, 4, v137
	v_and_b32_e32 v135, 0xf0f0f0f, v135
	v_lshlrev_b32_e32 v152, 4, v145
	v_lshlrev_b32_e32 v153, 11, v145
	;; [unrolled: 1-line block ×8, first 2 shown]
	v_and_b32_e32 v146, 16, v146
	v_and_b32_e32 v147, 0x1000, v147
	;; [unrolled: 1-line block ×4, first 2 shown]
	v_or3_b32 v138, v144, v138, v148
	v_and_b32_e32 v137, 0xf0f0f0f, v137
	v_and_b32_e32 v149, 16, v149
	;; [unrolled: 1-line block ×7, first 2 shown]
	v_or3_b32 v132, v132, v135, v151
	v_or3_b32 v138, v138, v146, v147
	v_and_b32_e32 v152, 16, v152
	v_and_b32_e32 v153, 0x1000, v153
	v_or3_b32 v135, v145, v143, v154
	v_or3_b32 v143, v136, v137, v157
	;; [unrolled: 1-line block ×3, first 2 shown]
	v_dot4c_i32_i8_e32 v139, v138, v14
	v_and_b32_e32 v155, 16, v155
	v_and_b32_e32 v156, 0x1000, v156
	v_or3_b32 v136, v135, v152, v153
	v_dot4c_i32_i8_e32 v140, v137, v15
	v_cvt_f32_i32_e32 v132, v139
	v_or3_b32 v135, v143, v155, v156
	v_dot4c_i32_i8_e32 v141, v136, v16
	v_cvt_f32_i32_e32 v139, v140
	v_dot4c_i32_i8_e32 v142, v135, v17
	v_fma_f32 v132, v0, v132, -v130
	v_cvt_f32_i32_e32 v140, v141
	v_fma_f32 v139, v0, v139, -v130
	v_cvt_f32_i32_e32 v141, v142
	v_fma_mix_f32 v132, v132, v133, 0 op_sel_hi:[0,1,0]
	v_fma_f32 v140, v2, v140, -v3
	v_fma_mix_f32 v132, v139, v133, v132 op_sel_hi:[0,1,0]
	v_fma_mix_f32 v132, v140, v134, v132 op_sel_hi:[0,1,0]
	v_fma_f32 v139, v2, v141, -v3
	v_fma_mix_f32 v132, v139, v134, v132 op_sel_hi:[0,1,0]
	ds_bpermute_b32 v139, v124, v132
	v_cndmask_b32_e64 v140, 0, 1, s[42:43]
	v_cmp_ne_u32_e64 s[14:15], 1, v140
	s_waitcnt lgkmcnt(0)
	v_add_f32_e32 v132, v132, v139
	ds_bpermute_b32 v139, v125, v132
	s_waitcnt lgkmcnt(0)
	v_add_f32_e32 v132, v132, v139
	s_cbranch_vccnz .LBB9_34
; %bb.33:                               ;   in Loop: Header=BB9_28 Depth=1
	v_mov_b32_e32 v139, s38
	v_add_co_u32_e32 v140, vcc, s8, v110
	v_addc_co_u32_e32 v141, vcc, v1, v139, vcc
	global_load_ushort v139, v[140:141], off offset:2
	s_waitcnt vmcnt(0)
	v_fma_mix_f32 v132, v121, v139, v132 op_sel_hi:[0,1,0]
.LBB9_34:                               ;   in Loop: Header=BB9_28 Depth=1
	v_mov_b32_e32 v139, 0
	v_dot4c_i32_i8_e32 v139, v138, v18
	v_cvt_f32_f16_e32 v133, v133
	v_cvt_f32_f16_e32 v134, v134
	s_and_b64 vcc, exec, s[12:13]
	v_cvt_f32_i32_e32 v138, v139
	v_mov_b32_e32 v139, 0
	v_dot4c_i32_i8_e32 v139, v137, v19
	v_fma_f32 v138, v4, v138, -v5
	v_fma_f32 v138, v138, v133, 0
	s_nop 0
	v_cvt_f32_i32_e32 v137, v139
	v_mov_b32_e32 v139, 0
	v_dot4c_i32_i8_e32 v139, v136, v20
	v_fma_f32 v137, v4, v137, -v5
	v_fmac_f32_e32 v138, v137, v133
	s_nop 0
	v_cvt_f32_i32_e32 v136, v139
	v_mov_b32_e32 v139, 0
	v_dot4c_i32_i8_e32 v139, v135, v21
	v_fma_f32 v133, v6, v136, -v7
	v_fmac_f32_e32 v138, v133, v134
	s_nop 0
	v_cvt_f32_i32_e32 v135, v139
	v_fma_f32 v133, v6, v135, -v7
	v_fmac_f32_e32 v138, v133, v134
	ds_bpermute_b32 v133, v124, v138
	s_waitcnt lgkmcnt(0)
	v_add_f32_e32 v133, v138, v133
	ds_bpermute_b32 v134, v125, v133
	s_waitcnt lgkmcnt(0)
	v_add_f32_e32 v133, v133, v134
	s_cbranch_vccnz .LBB9_36
; %bb.35:                               ;   in Loop: Header=BB9_28 Depth=1
	v_mov_b32_e32 v135, s38
	v_add_co_u32_e32 v134, vcc, s8, v26
	v_addc_co_u32_e32 v135, vcc, v27, v135, vcc
	global_load_ushort v134, v[134:135], off offset:2
	s_waitcnt vmcnt(0)
	v_fma_mix_f32 v133, v121, v134, v133 op_sel_hi:[0,1,0]
.LBB9_36:                               ;   in Loop: Header=BB9_28 Depth=1
	v_mov_b32_e32 v134, s27
	v_add_co_u32_e32 v138, vcc, s23, v36
	v_addc_co_u32_e32 v139, vcc, v37, v134, vcc
	v_add_co_u32_e32 v140, vcc, s23, v34
	v_addc_co_u32_e32 v141, vcc, v35, v134, vcc
	global_load_dword v135, v[138:139], off
	global_load_ushort v134, v[138:139], off offset:4
	global_load_dword v137, v[140:141], off offset:6
	global_load_dword v136, v[138:139], off offset:22
	s_nop 0
	global_load_ushort v138, v[138:139], off offset:26
	s_nop 0
	global_load_dword v139, v[140:141], off offset:28
	v_mov_b32_e32 v141, 0
	v_mov_b32_e32 v142, 0
	;; [unrolled: 1-line block ×4, first 2 shown]
	s_and_b64 vcc, exec, s[14:15]
	s_waitcnt vmcnt(4)
	v_perm_b32 v134, v135, v134, s51
	v_ashrrev_i32_e32 v146, v12, v134
	v_ashrrev_i32_e32 v134, v13, v134
	s_waitcnt vmcnt(1)
	v_perm_b32 v138, v136, v138, s51
	v_lshlrev_b32_e32 v148, 4, v146
	v_lshlrev_b32_e32 v149, 11, v146
	;; [unrolled: 1-line block ×4, first 2 shown]
	v_and_b32_e32 v140, 0xf0f0f0f, v137
	v_lshrrev_b32_e32 v137, 4, v137
	v_ashrrev_i32_e32 v147, v12, v138
	v_ashrrev_i32_e32 v138, v13, v138
	v_lshlrev_b32_e32 v151, 4, v134
	v_lshlrev_b32_e32 v152, 11, v134
	;; [unrolled: 1-line block ×4, first 2 shown]
	v_and_b32_e32 v150, 0x100000, v150
	v_and_b32_e32 v146, 0x10000000, v146
	s_waitcnt vmcnt(0)
	v_and_b32_e32 v145, 0xf0f0f0f, v139
	v_lshrrev_b32_e32 v139, 4, v139
	v_and_b32_e32 v137, 0xf0f0f0f, v137
	v_lshlrev_b32_e32 v154, 4, v147
	v_lshlrev_b32_e32 v155, 11, v147
	;; [unrolled: 1-line block ×8, first 2 shown]
	v_and_b32_e32 v148, 16, v148
	v_and_b32_e32 v149, 0x1000, v149
	;; [unrolled: 1-line block ×4, first 2 shown]
	v_or3_b32 v140, v146, v140, v150
	v_and_b32_e32 v139, 0xf0f0f0f, v139
	v_and_b32_e32 v151, 16, v151
	;; [unrolled: 1-line block ×7, first 2 shown]
	v_or3_b32 v134, v134, v137, v153
	v_or3_b32 v140, v140, v148, v149
	v_and_b32_e32 v154, 16, v154
	v_and_b32_e32 v155, 0x1000, v155
	v_or3_b32 v137, v147, v145, v156
	v_or3_b32 v145, v138, v139, v159
	;; [unrolled: 1-line block ×3, first 2 shown]
	v_dot4c_i32_i8_e32 v141, v140, v14
	v_and_b32_e32 v157, 16, v157
	v_and_b32_e32 v158, 0x1000, v158
	v_or3_b32 v138, v137, v154, v155
	v_dot4c_i32_i8_e32 v142, v139, v15
	v_cvt_f32_i32_e32 v134, v141
	v_or3_b32 v137, v145, v157, v158
	v_dot4c_i32_i8_e32 v143, v138, v16
	v_cvt_f32_i32_e32 v141, v142
	v_dot4c_i32_i8_e32 v144, v137, v17
	v_fma_f32 v134, v0, v134, -v130
	v_cvt_f32_i32_e32 v142, v143
	v_fma_f32 v141, v0, v141, -v130
	v_cvt_f32_i32_e32 v143, v144
	v_fma_mix_f32 v134, v134, v135, 0 op_sel_hi:[0,1,0]
	v_fma_f32 v142, v2, v142, -v3
	v_fma_mix_f32 v134, v141, v135, v134 op_sel_hi:[0,1,0]
	v_fma_mix_f32 v134, v142, v136, v134 op_sel_hi:[0,1,0]
	v_fma_f32 v141, v2, v143, -v3
	v_fma_mix_f32 v134, v141, v136, v134 op_sel_hi:[0,1,0]
	ds_bpermute_b32 v141, v124, v134
	s_waitcnt lgkmcnt(0)
	v_add_f32_e32 v134, v134, v141
	ds_bpermute_b32 v141, v125, v134
	s_waitcnt lgkmcnt(0)
	v_add_f32_e32 v134, v134, v141
	s_cbranch_vccnz .LBB9_38
; %bb.37:                               ;   in Loop: Header=BB9_28 Depth=1
	v_mov_b32_e32 v141, s38
	v_add_co_u32_e32 v142, vcc, s8, v110
	v_addc_co_u32_e32 v143, vcc, v1, v141, vcc
	global_load_ushort v141, v[142:143], off offset:4
	s_waitcnt vmcnt(0)
	v_fma_mix_f32 v134, v121, v141, v134 op_sel_hi:[0,1,0]
.LBB9_38:                               ;   in Loop: Header=BB9_28 Depth=1
	v_mov_b32_e32 v141, 0
	v_dot4c_i32_i8_e32 v141, v140, v18
	v_cvt_f32_f16_e32 v135, v135
	v_cvt_f32_f16_e32 v136, v136
	s_and_b64 vcc, exec, s[12:13]
	v_cvt_f32_i32_e32 v140, v141
	v_mov_b32_e32 v141, 0
	v_dot4c_i32_i8_e32 v141, v139, v19
	v_fma_f32 v140, v4, v140, -v5
	v_fma_f32 v140, v140, v135, 0
	s_nop 0
	v_cvt_f32_i32_e32 v139, v141
	v_mov_b32_e32 v141, 0
	v_dot4c_i32_i8_e32 v141, v138, v20
	v_fma_f32 v139, v4, v139, -v5
	v_fmac_f32_e32 v140, v139, v135
	s_nop 0
	v_cvt_f32_i32_e32 v138, v141
	v_mov_b32_e32 v141, 0
	v_dot4c_i32_i8_e32 v141, v137, v21
	v_fma_f32 v135, v6, v138, -v7
	v_fmac_f32_e32 v140, v135, v136
	s_nop 0
	v_cvt_f32_i32_e32 v137, v141
	v_fma_f32 v135, v6, v137, -v7
	v_fmac_f32_e32 v140, v135, v136
	ds_bpermute_b32 v135, v124, v140
	s_waitcnt lgkmcnt(0)
	v_add_f32_e32 v135, v140, v135
	ds_bpermute_b32 v136, v125, v135
	s_waitcnt lgkmcnt(0)
	v_add_f32_e32 v135, v135, v136
	s_cbranch_vccnz .LBB9_40
; %bb.39:                               ;   in Loop: Header=BB9_28 Depth=1
	v_mov_b32_e32 v137, s38
	v_add_co_u32_e32 v136, vcc, s8, v26
	v_addc_co_u32_e32 v137, vcc, v27, v137, vcc
	global_load_ushort v136, v[136:137], off offset:4
	s_waitcnt vmcnt(0)
	v_fma_mix_f32 v135, v121, v136, v135 op_sel_hi:[0,1,0]
.LBB9_40:                               ;   in Loop: Header=BB9_28 Depth=1
	v_mov_b32_e32 v136, s27
	v_add_co_u32_e32 v138, vcc, s23, v32
	v_addc_co_u32_e32 v139, vcc, v33, v136, vcc
	v_add_co_u32_e32 v140, vcc, s23, v30
	v_addc_co_u32_e32 v141, vcc, v31, v136, vcc
	global_load_dword v136, v[138:139], off
	global_load_ushort v142, v[138:139], off offset:4
	global_load_dword v143, v[140:141], off offset:6
	global_load_dword v137, v[138:139], off offset:22
	s_nop 0
	global_load_ushort v138, v[138:139], off offset:26
	s_nop 0
	global_load_dword v139, v[140:141], off offset:28
	v_mov_b32_e32 v144, 0
	v_mov_b32_e32 v145, 0
	;; [unrolled: 1-line block ×4, first 2 shown]
	s_and_b64 vcc, exec, s[14:15]
	s_waitcnt vmcnt(4)
	v_perm_b32 v140, v136, v142, s51
	v_ashrrev_i32_e32 v148, v12, v140
	v_ashrrev_i32_e32 v140, v13, v140
	s_waitcnt vmcnt(1)
	v_perm_b32 v138, v137, v138, s51
	v_lshlrev_b32_e32 v150, 4, v148
	v_lshlrev_b32_e32 v151, 11, v148
	;; [unrolled: 1-line block ×4, first 2 shown]
	v_and_b32_e32 v141, 0xf0f0f0f, v143
	v_lshrrev_b32_e32 v142, 4, v143
	v_ashrrev_i32_e32 v149, v12, v138
	v_ashrrev_i32_e32 v138, v13, v138
	v_lshlrev_b32_e32 v153, 4, v140
	v_lshlrev_b32_e32 v154, 11, v140
	;; [unrolled: 1-line block ×4, first 2 shown]
	v_and_b32_e32 v152, 0x100000, v152
	v_and_b32_e32 v148, 0x10000000, v148
	s_waitcnt vmcnt(0)
	v_and_b32_e32 v143, 0xf0f0f0f, v139
	v_lshrrev_b32_e32 v139, 4, v139
	v_and_b32_e32 v142, 0xf0f0f0f, v142
	v_lshlrev_b32_e32 v156, 4, v149
	v_lshlrev_b32_e32 v157, 11, v149
	v_lshlrev_b32_e32 v158, 18, v149
	v_lshlrev_b32_e32 v149, 25, v149
	v_lshlrev_b32_e32 v159, 4, v138
	v_lshlrev_b32_e32 v160, 11, v138
	v_lshlrev_b32_e32 v161, 18, v138
	v_lshlrev_b32_e32 v138, 25, v138
	v_and_b32_e32 v150, 16, v150
	v_and_b32_e32 v151, 0x1000, v151
	;; [unrolled: 1-line block ×4, first 2 shown]
	v_or3_b32 v141, v148, v141, v152
	v_and_b32_e32 v139, 0xf0f0f0f, v139
	v_and_b32_e32 v153, 16, v153
	;; [unrolled: 1-line block ×7, first 2 shown]
	v_or3_b32 v140, v140, v142, v155
	v_or3_b32 v142, v141, v150, v151
	v_and_b32_e32 v156, 16, v156
	v_and_b32_e32 v157, 0x1000, v157
	;; [unrolled: 1-line block ×4, first 2 shown]
	v_or3_b32 v143, v149, v143, v158
	v_or3_b32 v138, v138, v139, v161
	;; [unrolled: 1-line block ×3, first 2 shown]
	v_dot4c_i32_i8_e32 v144, v142, v14
	v_or3_b32 v140, v143, v156, v157
	v_or3_b32 v139, v138, v159, v160
	v_dot4c_i32_i8_e32 v145, v141, v15
	v_cvt_f32_i32_e32 v138, v144
	v_dot4c_i32_i8_e32 v146, v140, v16
	v_dot4c_i32_i8_e32 v147, v139, v17
	v_cvt_f32_i32_e32 v143, v145
	v_fma_f32 v138, v0, v138, -v130
	v_cvt_f32_i32_e32 v144, v146
	v_cvt_f32_i32_e32 v145, v147
	v_fma_f32 v143, v0, v143, -v130
	v_fma_mix_f32 v138, v138, v136, 0 op_sel_hi:[0,1,0]
	v_fma_f32 v144, v2, v144, -v3
	v_fma_mix_f32 v138, v143, v136, v138 op_sel_hi:[0,1,0]
	v_fma_mix_f32 v138, v144, v137, v138 op_sel_hi:[0,1,0]
	v_fma_f32 v143, v2, v145, -v3
	v_fma_mix_f32 v138, v143, v137, v138 op_sel_hi:[0,1,0]
	ds_bpermute_b32 v143, v124, v138
	s_waitcnt lgkmcnt(0)
	v_add_f32_e32 v138, v138, v143
	ds_bpermute_b32 v143, v125, v138
	s_waitcnt lgkmcnt(0)
	v_add_f32_e32 v138, v138, v143
	s_cbranch_vccnz .LBB9_42
; %bb.41:                               ;   in Loop: Header=BB9_28 Depth=1
	v_mov_b32_e32 v143, s38
	v_add_co_u32_e32 v144, vcc, s8, v110
	v_addc_co_u32_e32 v145, vcc, v1, v143, vcc
	global_load_ushort v143, v[144:145], off offset:6
	s_waitcnt vmcnt(0)
	v_fma_mix_f32 v138, v121, v143, v138 op_sel_hi:[0,1,0]
.LBB9_42:                               ;   in Loop: Header=BB9_28 Depth=1
	v_mov_b32_e32 v143, 0
	v_dot4c_i32_i8_e32 v143, v142, v18
	v_cvt_f32_f16_e32 v136, v136
	v_cvt_f32_f16_e32 v137, v137
	s_and_b64 vcc, exec, s[12:13]
	v_cvt_f32_i32_e32 v142, v143
	v_mov_b32_e32 v143, 0
	v_dot4c_i32_i8_e32 v143, v141, v19
	v_fma_f32 v142, v4, v142, -v5
	v_fma_f32 v142, v142, v136, 0
	s_nop 0
	v_cvt_f32_i32_e32 v141, v143
	v_mov_b32_e32 v143, 0
	v_dot4c_i32_i8_e32 v143, v140, v20
	v_fma_f32 v141, v4, v141, -v5
	v_fmac_f32_e32 v142, v141, v136
	s_nop 0
	v_cvt_f32_i32_e32 v140, v143
	v_mov_b32_e32 v143, 0
	v_dot4c_i32_i8_e32 v143, v139, v21
	v_fma_f32 v136, v6, v140, -v7
	v_fmac_f32_e32 v142, v136, v137
	s_nop 0
	v_cvt_f32_i32_e32 v139, v143
	v_fma_f32 v136, v6, v139, -v7
	v_fmac_f32_e32 v142, v136, v137
	ds_bpermute_b32 v136, v124, v142
	s_waitcnt lgkmcnt(0)
	v_add_f32_e32 v136, v142, v136
	ds_bpermute_b32 v137, v125, v136
	s_waitcnt lgkmcnt(0)
	v_add_f32_e32 v136, v136, v137
	s_cbranch_vccnz .LBB9_27
; %bb.43:                               ;   in Loop: Header=BB9_28 Depth=1
	v_mov_b32_e32 v137, s38
	v_add_co_u32_e32 v140, vcc, s8, v26
	v_addc_co_u32_e32 v141, vcc, v27, v137, vcc
	global_load_ushort v137, v[140:141], off offset:6
	s_waitcnt vmcnt(0)
	v_fma_mix_f32 v136, v121, v137, v136 op_sel_hi:[0,1,0]
	s_branch .LBB9_27
.LBB9_44:
	ds_write_b128 v120, v[8:11]
.LBB9_45:
	s_cmp_eq_u64 s[24:25], 0
	s_cselect_b64 s[2:3], -1, 0
	s_cmp_lg_u32 s9, 0
	s_cselect_b64 s[4:5], -1, 0
	s_or_b64 s[2:3], s[4:5], s[2:3]
	s_or_b64 s[0:1], s[0:1], s[2:3]
	s_xor_b64 s[0:1], s[0:1], -1
	s_and_saveexec_b64 s[2:3], s[0:1]
	s_cbranch_execz .LBB9_47
; %bb.46:
	s_ashr_i32 s37, s36, 31
	s_lshl_b64 s[0:1], s[36:37], 2
	s_add_u32 s0, s24, s0
	s_addc_u32 s1, s25, s1
	s_load_dword s4, s[0:1], 0x0
	v_cmp_eq_u32_e32 vcc, 1, v116
	v_cndmask_b32_e32 v0, v28, v29, vcc
	v_max_f32_e32 v1, v0, v0
	s_mov_b32 s5, 0x3fb8aa3b
	s_waitcnt lgkmcnt(0)
	v_max_f32_e64 v2, s4, s4
	v_max_f32_e32 v2, v2, v1
	v_sub_f32_e32 v0, v0, v2
	v_mul_f32_e32 v1, 0x3fb8aa3b, v0
	v_fma_f32 v3, v0, s5, -v1
	v_rndne_f32_e32 v4, v1
	v_fmac_f32_e32 v3, 0x32a5705f, v0
	v_sub_f32_e32 v1, v1, v4
	v_add_f32_e32 v1, v1, v3
	v_cvt_i32_f32_e32 v3, v4
	v_sub_f32_e32 v4, s4, v2
	v_mul_f32_e32 v5, 0x3fb8aa3b, v4
	v_fma_f32 v6, v4, s5, -v5
	v_rndne_f32_e32 v7, v5
	v_exp_f32_e32 v1, v1
	v_fmac_f32_e32 v6, 0x32a5705f, v4
	v_sub_f32_e32 v5, v5, v7
	v_add_f32_e32 v5, v5, v6
	v_exp_f32_e32 v5, v5
	v_cvt_i32_f32_e32 v6, v7
	s_mov_b32 s8, 0xc2ce8ed0
	v_ldexp_f32 v1, v1, v3
	v_cmp_ngt_f32_e64 s[0:1], s8, v0
	s_mov_b32 s10, 0x42b17218
	v_cndmask_b32_e64 v1, 0, v1, s[0:1]
	v_mov_b32_e32 v3, 0x7f800000
	v_cmp_nlt_f32_e64 s[0:1], s10, v0
	v_cndmask_b32_e64 v7, v3, v1, s[0:1]
	v_ldexp_f32 v0, v5, v6
	v_cmp_ngt_f32_e64 s[0:1], s8, v4
	v_cndmask_b32_e64 v0, 0, v0, s[0:1]
	v_cmp_nlt_f32_e64 s[0:1], s10, v4
	v_lshl_add_u32 v4, v116, 3, v120
	v_cndmask_b32_e64 v3, v3, v0, s[0:1]
	ds_read_b64 v[0:1], v4
	v_cvt_f16_f32_e32 v5, v7
	v_cmp_eq_u32_e64 s[0:1], 0, v111
	v_cndmask_b32_e32 v8, v22, v23, vcc
	v_cndmask_b32_e64 v3, 0, v3, s[0:1]
	v_fmac_f32_e32 v3, v8, v7
	v_cmp_eq_u32_e64 s[0:1], 0, v116
	s_waitcnt lgkmcnt(0)
	v_pk_mul_f16 v0, v5, v0 op_sel_hi:[0,1]
	v_pk_mul_f16 v1, v5, v1 op_sel_hi:[0,1]
	v_cndmask_b32_e32 v29, v29, v2, vcc
	v_cndmask_b32_e64 v28, v28, v2, s[0:1]
	v_cndmask_b32_e32 v23, v23, v3, vcc
	v_cndmask_b32_e64 v22, v22, v3, s[0:1]
	ds_write_b64 v4, v[0:1]
.LBB9_47:
	s_or_b64 exec, exec, s[2:3]
	v_cmp_eq_u32_e32 vcc, 0, v116
	s_and_saveexec_b64 s[0:1], vcc
	s_cbranch_execz .LBB9_49
; %bb.48:
	v_mov_b32_e32 v0, 0xfeffffff
	v_add_u32_e32 v2, 0x400, v119
	v_mov_b32_e32 v1, 0
	ds_write2_b32 v2, v0, v0 offset1:32
	ds_write2_b32 v2, v1, v1 offset0:64 offset1:96
.LBB9_49:
	s_or_b64 exec, exec, s[0:1]
	v_cmp_eq_u32_e64 s[0:1], 0, v111
	s_waitcnt lgkmcnt(0)
	s_barrier
	s_and_saveexec_b64 s[2:3], s[0:1]
	s_cbranch_execz .LBB9_51
; %bb.50:
	v_lshlrev_b32_e32 v0, 2, v116
	v_add_u32_e32 v0, 0x400, v0
	ds_write2_b32 v0, v28, v29 offset1:32
.LBB9_51:
	s_or_b64 exec, exec, s[2:3]
	s_cmp_lt_i32 s33, s34
	s_waitcnt lgkmcnt(0)
	s_barrier
	s_cbranch_scc1 .LBB9_53
; %bb.52:
	s_add_u32 s4, s6, 0xd0
	s_addc_u32 s5, s7, 0
	s_mul_i32 s8, s52, s34
	s_cbranch_execz .LBB9_54
	s_branch .LBB9_66
.LBB9_53:
                                        ; implicit-def: $sgpr4_sgpr5
	s_mul_i32 s8, s52, s34
.LBB9_54:
	v_mbcnt_hi_u32_b32 v0, -1, v122
	v_and_b32_e32 v1, 0x60, v0
	ds_read_b32 v2, v119 offset:1024
	v_add_u32_e32 v1, 32, v1
	v_xor_b32_e32 v3, 16, v0
	v_cmp_lt_i32_e32 vcc, v3, v1
	v_cndmask_b32_e32 v3, v0, v3, vcc
	v_lshlrev_b32_e32 v6, 2, v3
	s_waitcnt lgkmcnt(0)
	ds_bpermute_b32 v4, v6, v2
	v_xor_b32_e32 v3, 8, v0
	v_cmp_lt_i32_e32 vcc, v3, v1
	v_cndmask_b32_e32 v3, v0, v3, vcc
	v_max_f32_e32 v2, v2, v2
	s_waitcnt lgkmcnt(0)
	v_max_f32_e32 v4, v4, v4
	v_lshlrev_b32_e32 v3, 2, v3
	v_max_f32_e32 v2, v2, v4
	ds_bpermute_b32 v5, v3, v2
	v_xor_b32_e32 v4, 4, v0
	v_cmp_lt_i32_e32 vcc, v4, v1
	v_cndmask_b32_e32 v4, v0, v4, vcc
	v_lshlrev_b32_e32 v4, 2, v4
	s_waitcnt lgkmcnt(0)
	v_max_f32_e32 v5, v5, v5
	v_max_f32_e32 v2, v2, v5
	ds_bpermute_b32 v7, v4, v2
	v_xor_b32_e32 v5, 2, v0
	v_cmp_lt_i32_e32 vcc, v5, v1
	v_cndmask_b32_e32 v5, v0, v5, vcc
	v_lshlrev_b32_e32 v5, 2, v5
	s_waitcnt lgkmcnt(0)
	v_max_f32_e32 v7, v7, v7
	;; [unrolled: 8-line block ×3, first 2 shown]
	v_max_f32_e32 v0, v7, v0
	ds_bpermute_b32 v1, v2, v0
	s_mov_b32 s2, 0x3fb8aa3b
	v_lshlrev_b32_e32 v10, 3, v111
	s_waitcnt lgkmcnt(0)
	v_max_f32_e32 v1, v1, v1
	v_max_f32_e32 v0, v0, v1
	v_sub_f32_e32 v1, v28, v0
	v_mul_f32_e32 v7, 0x3fb8aa3b, v1
	v_fma_f32 v8, v1, s2, -v7
	v_rndne_f32_e32 v9, v7
	v_fmac_f32_e32 v8, 0x32a5705f, v1
	v_sub_f32_e32 v7, v7, v9
	v_add_f32_e32 v7, v7, v8
	v_exp_f32_e32 v7, v7
	v_cvt_i32_f32_e32 v8, v9
	s_mov_b32 s2, 0xc2ce8ed0
	v_cmp_ngt_f32_e32 vcc, s2, v1
	s_mov_b32 s2, 0x42b17218
	v_ldexp_f32 v7, v7, v8
	v_cndmask_b32_e32 v7, 0, v7, vcc
	v_mov_b32_e32 v8, 0x7f800000
	v_cmp_nlt_f32_e32 vcc, s2, v1
	v_cndmask_b32_e32 v1, v8, v7, vcc
	v_mul_f32_e32 v7, v22, v1
	ds_bpermute_b32 v7, v6, v7
	v_and_b32_e32 v9, 0x380, v10
	v_lshl_add_u32 v11, v116, 8, v9
	s_movk_i32 s2, 0x78
	s_waitcnt lgkmcnt(0)
	v_fmac_f32_e32 v7, v22, v1
	ds_bpermute_b32 v8, v3, v7
	v_cvt_f16_f32_e32 v1, v1
	s_waitcnt lgkmcnt(0)
	v_add_f32_e32 v7, v7, v8
	ds_bpermute_b32 v8, v4, v7
	s_waitcnt lgkmcnt(0)
	v_add_f32_e32 v12, v7, v8
	ds_bpermute_b32 v13, v5, v12
	v_and_or_b32 v7, v10, s2, v11
	ds_read_b64 v[8:9], v120
	s_waitcnt lgkmcnt(1)
	v_add_f32_e32 v10, v12, v13
	ds_bpermute_b32 v11, v2, v10
	s_waitcnt lgkmcnt(1)
	v_pk_mul_f16 v8, v1, v8 op_sel_hi:[0,1]
	v_pk_mul_f16 v9, v1, v9 op_sel_hi:[0,1]
	ds_write_b64 v120, v[8:9]
	ds_write_b64 v7, v[8:9]
	s_waitcnt lgkmcnt(2)
	v_add_f32_e32 v22, v10, v11
	s_and_saveexec_b64 s[2:3], s[0:1]
	s_cbranch_execz .LBB9_56
; %bb.55:
	v_lshlrev_b32_e32 v1, 2, v116
	ds_write_b32 v1, v22 offset:1280
.LBB9_56:
	s_or_b64 exec, exec, s[2:3]
	s_add_u32 s4, s6, 0xd0
	v_cmp_gt_u32_e64 s[2:3], 64, v117
	s_addc_u32 s5, s7, 0
	s_add_i32 s10, s8, s33
	s_waitcnt lgkmcnt(0)
	s_barrier
	s_and_saveexec_b64 s[6:7], s[2:3]
	s_cbranch_execz .LBB9_58
; %bb.57:
	ds_read_b32 v9, v119 offset:1280
	ds_read_u16 v1, v118
	ds_read_u16 v8, v118 offset:128
	ds_read_u16 v10, v118 offset:256
	;; [unrolled: 1-line block ×6, first 2 shown]
	s_waitcnt lgkmcnt(6)
	v_cvt_f32_f16_e32 v1, v1
	s_waitcnt lgkmcnt(5)
	v_cvt_f32_f16_e32 v8, v8
	ds_bpermute_b32 v11, v6, v9
	s_waitcnt lgkmcnt(5)
	v_cvt_f32_f16_e32 v16, v10
	s_waitcnt lgkmcnt(4)
	v_cvt_f32_f16_e32 v10, v12
	v_add_f32_e32 v1, 0, v1
	v_add_f32_e32 v1, v1, v8
	v_add_f32_e32 v8, v1, v16
	s_waitcnt lgkmcnt(0)
	v_pk_add_f32 v[8:9], v[8:9], v[10:11]
	ds_bpermute_b32 v11, v3, v9
	v_cvt_f32_f16_e32 v10, v13
	ds_read_u16 v1, v118 offset:896
	s_load_dword s11, s[4:5], 0x4
	s_mul_i32 s14, s10, s35
	s_waitcnt lgkmcnt(0)
	v_pk_add_f32 v[8:9], v[8:9], v[10:11]
	ds_bpermute_b32 v11, v4, v9
	v_cvt_f32_f16_e32 v10, v14
	s_cmp_eq_u32 s11, 1
	s_waitcnt lgkmcnt(0)
	v_pk_add_f32 v[8:9], v[8:9], v[10:11]
	ds_bpermute_b32 v11, v5, v9
	v_cvt_f32_f16_e32 v10, v15
	s_waitcnt lgkmcnt(0)
	v_pk_add_f32 v[8:9], v[8:9], v[10:11]
	ds_bpermute_b32 v11, v2, v9
	v_cvt_f32_f16_e32 v10, v1
	s_waitcnt lgkmcnt(0)
	v_pk_add_f32 v[8:9], v[8:9], v[10:11]
	v_div_scale_f32 v1, s[12:13], v9, v9, v8
	v_rcp_f32_e32 v10, v1
	v_div_scale_f32 v11, vcc, v8, v9, v8
	v_mov_b32_e32 v22, v9
	v_fma_f32 v12, -v1, v10, 1.0
	v_fmac_f32_e32 v10, v12, v10
	v_mul_f32_e32 v12, v11, v10
	v_fma_f32 v13, -v1, v12, v11
	v_fmac_f32_e32 v12, v13, v10
	v_fma_f32 v1, -v1, v12, v11
	v_div_fmas_f32 v1, v1, v10, v12
	s_cselect_b64 vcc, -1, 0
	s_add_i32 s14, s14, s36
	s_mul_i32 s11, s11, s14
	v_div_fixup_f32 v1, v1, v9, v8
	s_add_i32 s11, s11, s9
	v_cndmask_b32_e32 v1, v8, v1, vcc
	v_lshl_or_b32 v8, s11, 6, v117
	v_mov_b32_e32 v9, 0
	v_lshlrev_b64 v[8:9], 2, v[8:9]
	v_mov_b32_e32 v10, s29
	v_add_co_u32_e32 v8, vcc, s28, v8
	v_addc_co_u32_e32 v9, vcc, v10, v9, vcc
	global_store_dword v[8:9], v1, off
.LBB9_58:
	s_or_b64 exec, exec, s[6:7]
	s_or_b32 s6, s33, 1
	s_cmp_ge_i32 s6, s34
	s_barrier
	s_cbranch_scc1 .LBB9_64
; %bb.59:
	v_or_b32_e32 v1, 0x400, v119
	ds_read_b32 v1, v1 offset:128
	s_mov_b32 s6, 0x3fb8aa3b
	s_mov_b32 s7, 0x42b17218
	s_waitcnt lgkmcnt(0)
	ds_bpermute_b32 v8, v6, v1
	v_max_f32_e32 v1, v1, v1
	s_waitcnt lgkmcnt(0)
	v_max_f32_e32 v8, v8, v8
	v_max_f32_e32 v1, v1, v8
	ds_bpermute_b32 v8, v3, v1
	s_waitcnt lgkmcnt(0)
	v_max_f32_e32 v8, v8, v8
	v_max_f32_e32 v1, v1, v8
	ds_bpermute_b32 v8, v4, v1
	;; [unrolled: 4-line block ×4, first 2 shown]
	s_waitcnt lgkmcnt(0)
	v_max_f32_e32 v8, v8, v8
	v_max_f32_e32 v1, v1, v8
	v_sub_f32_e32 v8, v29, v1
	v_mul_f32_e32 v9, 0x3fb8aa3b, v8
	v_fma_f32 v10, v8, s6, -v9
	v_rndne_f32_e32 v11, v9
	v_fmac_f32_e32 v10, 0x32a5705f, v8
	v_sub_f32_e32 v9, v9, v11
	v_add_f32_e32 v9, v9, v10
	v_cvt_i32_f32_e32 v11, v11
	v_exp_f32_e32 v9, v9
	s_mov_b32 s6, 0xc2ce8ed0
	v_cmp_ngt_f32_e32 vcc, s6, v8
	v_mov_b32_e32 v10, 0x7f800000
	v_ldexp_f32 v9, v9, v11
	v_cndmask_b32_e32 v9, 0, v9, vcc
	v_cmp_nlt_f32_e32 vcc, s7, v8
	v_cndmask_b32_e32 v10, v10, v9, vcc
	v_mul_f32_e32 v8, v23, v10
	ds_bpermute_b32 v8, v6, v8
	s_waitcnt lgkmcnt(0)
	v_fmac_f32_e32 v8, v23, v10
	ds_bpermute_b32 v9, v3, v8
	v_cvt_f16_f32_e32 v10, v10
	s_waitcnt lgkmcnt(0)
	v_add_f32_e32 v8, v8, v9
	ds_bpermute_b32 v9, v4, v8
	s_waitcnt lgkmcnt(0)
	v_add_f32_e32 v11, v8, v9
	ds_bpermute_b32 v12, v5, v11
	ds_read_b64 v[8:9], v120 offset:8
	s_waitcnt lgkmcnt(1)
	v_add_f32_e32 v11, v11, v12
	ds_bpermute_b32 v12, v2, v11
	s_waitcnt lgkmcnt(1)
	v_pk_mul_f16 v8, v10, v8 op_sel_hi:[0,1]
	v_pk_mul_f16 v9, v10, v9 op_sel_hi:[0,1]
	ds_write_b64 v120, v[8:9] offset:8
	ds_write_b64 v7, v[8:9]
	s_waitcnt lgkmcnt(2)
	v_add_f32_e32 v23, v11, v12
	s_and_saveexec_b64 s[6:7], s[0:1]
	s_cbranch_execz .LBB9_61
; %bb.60:
	v_lshlrev_b32_e32 v7, 2, v116
	ds_write_b32 v7, v23 offset:1408
.LBB9_61:
	s_or_b64 exec, exec, s[6:7]
	s_waitcnt lgkmcnt(0)
	s_barrier
	s_and_saveexec_b64 s[0:1], s[2:3]
	s_cbranch_execz .LBB9_63
; %bb.62:
	ds_read_b32 v7, v119 offset:1408
	ds_read_u16 v8, v118
	ds_read_u16 v10, v118 offset:128
	ds_read_u16 v11, v118 offset:256
	ds_read_u16 v12, v118 offset:384
	ds_read_u16 v13, v118 offset:512
	ds_read_u16 v14, v118 offset:640
	ds_read_u16 v15, v118 offset:768
	s_waitcnt lgkmcnt(7)
	ds_bpermute_b32 v9, v6, v7
	s_waitcnt lgkmcnt(7)
	v_cvt_f32_f16_e32 v6, v8
	s_waitcnt lgkmcnt(6)
	v_cvt_f32_f16_e32 v10, v10
	;; [unrolled: 2-line block ×4, first 2 shown]
	v_add_f32_e32 v6, 0, v6
	v_add_f32_e32 v6, v6, v10
	;; [unrolled: 1-line block ×3, first 2 shown]
	s_waitcnt lgkmcnt(0)
	v_pk_add_f32 v[6:7], v[6:7], v[8:9]
	ds_bpermute_b32 v9, v3, v7
	v_cvt_f32_f16_e32 v8, v13
	s_add_i32 s2, s10, 1
	s_mul_i32 s2, s2, s35
	s_add_i32 s7, s2, s36
	s_waitcnt lgkmcnt(0)
	v_pk_add_f32 v[6:7], v[6:7], v[8:9]
	ds_bpermute_b32 v9, v4, v7
	v_cvt_f32_f16_e32 v8, v14
	v_cvt_f32_f16_e32 v4, v15
	s_load_dword s6, s[4:5], 0x4
	s_waitcnt lgkmcnt(0)
	v_pk_add_f32 v[6:7], v[6:7], v[8:9]
	ds_bpermute_b32 v5, v5, v7
	ds_read_u16 v8, v118 offset:896
	s_cmp_eq_u32 s6, 1
	s_waitcnt lgkmcnt(1)
	v_pk_add_f32 v[4:5], v[6:7], v[4:5]
	ds_bpermute_b32 v3, v2, v5
	s_waitcnt lgkmcnt(1)
	v_cvt_f32_f16_e32 v2, v8
	s_waitcnt lgkmcnt(0)
	v_pk_add_f32 v[2:3], v[4:5], v[2:3]
	v_div_scale_f32 v4, s[2:3], v3, v3, v2
	v_rcp_f32_e32 v5, v4
	v_div_scale_f32 v6, vcc, v2, v3, v2
	s_mul_i32 s2, s6, s7
	v_fma_f32 v7, -v4, v5, 1.0
	v_fmac_f32_e32 v5, v7, v5
	v_mul_f32_e32 v7, v6, v5
	v_fma_f32 v8, -v4, v7, v6
	v_fmac_f32_e32 v7, v8, v5
	v_fma_f32 v4, -v4, v7, v6
	v_div_fmas_f32 v4, v4, v5, v7
	v_mov_b32_e32 v23, v3
	v_div_fixup_f32 v3, v4, v3, v2
	s_cselect_b64 vcc, -1, 0
	s_add_i32 s2, s2, s9
	v_cndmask_b32_e32 v4, v2, v3, vcc
	v_lshl_or_b32 v2, s2, 6, v117
	v_mov_b32_e32 v3, 0
	v_lshlrev_b64 v[2:3], 2, v[2:3]
	v_mov_b32_e32 v5, s29
	v_add_co_u32_e32 v2, vcc, s28, v2
	v_addc_co_u32_e32 v3, vcc, v5, v3, vcc
	global_store_dword v[2:3], v4, off
.LBB9_63:
	s_or_b64 exec, exec, s[0:1]
	s_branch .LBB9_65
.LBB9_64:
	v_mov_b32_e32 v1, v29
.LBB9_65:
	v_pk_mov_b32 v[28:29], v[0:1], v[0:1] op_sel:[0,1]
.LBB9_66:
	s_load_dword s0, s[4:5], 0x4
	v_cmp_gt_u32_e32 vcc, 2, v117
	v_or_b32_e32 v0, s33, v111
	s_waitcnt lgkmcnt(0)
	s_cmp_lg_u32 s0, 1
	s_cselect_b64 s[2:3], -1, 0
	s_and_b64 s[2:3], vcc, s[2:3]
	v_cmp_gt_i32_e32 vcc, s34, v0
	s_and_b64 s[2:3], s[2:3], vcc
	s_and_saveexec_b64 s[4:5], s[2:3]
	s_cbranch_execz .LBB9_68
; %bb.67:
	v_add_u32_e32 v0, s8, v0
	v_mul_lo_u32 v0, v0, s35
	v_add_u32_e32 v0, s36, v0
	v_mul_lo_u32 v0, s0, v0
	v_add_u32_e32 v0, s9, v0
	v_mov_b32_e32 v1, 0
	v_cmp_eq_u32_e32 vcc, 1, v117
	v_lshlrev_b64 v[0:1], 3, v[0:1]
	v_cndmask_b32_e32 v2, v28, v29, vcc
	v_cndmask_b32_e32 v3, v22, v23, vcc
	v_mov_b32_e32 v4, s31
	v_add_co_u32_e32 v0, vcc, s30, v0
	v_addc_co_u32_e32 v1, vcc, v4, v1, vcc
	global_store_dwordx2 v[0:1], v[2:3], off
.LBB9_68:
	s_endpgm
	.section	.rodata,"a",@progbits
	.p2align	6, 0x0
	.amdhsa_kernel _ZL18flash_attn_ext_vecILi64ELi2EL9ggml_type6ELS0_8ELb0EEvPKcS2_S2_S2_S2_PKiPfP15HIP_vector_typeIfLj2EEffffjfiS6_IjLj3EEiiiiiiiiiiiliiliiiiil
		.amdhsa_group_segment_fixed_size 3584
		.amdhsa_private_segment_fixed_size 0
		.amdhsa_kernarg_size 464
		.amdhsa_user_sgpr_count 8
		.amdhsa_user_sgpr_private_segment_buffer 1
		.amdhsa_user_sgpr_dispatch_ptr 1
		.amdhsa_user_sgpr_queue_ptr 0
		.amdhsa_user_sgpr_kernarg_segment_ptr 1
		.amdhsa_user_sgpr_dispatch_id 0
		.amdhsa_user_sgpr_flat_scratch_init 0
		.amdhsa_user_sgpr_kernarg_preload_length 0
		.amdhsa_user_sgpr_kernarg_preload_offset 0
		.amdhsa_user_sgpr_private_segment_size 0
		.amdhsa_uses_dynamic_stack 0
		.amdhsa_system_sgpr_private_segment_wavefront_offset 0
		.amdhsa_system_sgpr_workgroup_id_x 1
		.amdhsa_system_sgpr_workgroup_id_y 1
		.amdhsa_system_sgpr_workgroup_id_z 1
		.amdhsa_system_sgpr_workgroup_info 0
		.amdhsa_system_vgpr_workitem_id 2
		.amdhsa_next_free_vgpr 162
		.amdhsa_next_free_sgpr 68
		.amdhsa_accum_offset 164
		.amdhsa_reserve_vcc 1
		.amdhsa_reserve_flat_scratch 0
		.amdhsa_float_round_mode_32 0
		.amdhsa_float_round_mode_16_64 0
		.amdhsa_float_denorm_mode_32 3
		.amdhsa_float_denorm_mode_16_64 3
		.amdhsa_dx10_clamp 1
		.amdhsa_ieee_mode 1
		.amdhsa_fp16_overflow 0
		.amdhsa_tg_split 0
		.amdhsa_exception_fp_ieee_invalid_op 0
		.amdhsa_exception_fp_denorm_src 0
		.amdhsa_exception_fp_ieee_div_zero 0
		.amdhsa_exception_fp_ieee_overflow 0
		.amdhsa_exception_fp_ieee_underflow 0
		.amdhsa_exception_fp_ieee_inexact 0
		.amdhsa_exception_int_div_zero 0
	.end_amdhsa_kernel
	.section	.text._ZL18flash_attn_ext_vecILi64ELi2EL9ggml_type6ELS0_8ELb0EEvPKcS2_S2_S2_S2_PKiPfP15HIP_vector_typeIfLj2EEffffjfiS6_IjLj3EEiiiiiiiiiiiliiliiiiil,"axG",@progbits,_ZL18flash_attn_ext_vecILi64ELi2EL9ggml_type6ELS0_8ELb0EEvPKcS2_S2_S2_S2_PKiPfP15HIP_vector_typeIfLj2EEffffjfiS6_IjLj3EEiiiiiiiiiiiliiliiiiil,comdat
.Lfunc_end9:
	.size	_ZL18flash_attn_ext_vecILi64ELi2EL9ggml_type6ELS0_8ELb0EEvPKcS2_S2_S2_S2_PKiPfP15HIP_vector_typeIfLj2EEffffjfiS6_IjLj3EEiiiiiiiiiiiliiliiiiil, .Lfunc_end9-_ZL18flash_attn_ext_vecILi64ELi2EL9ggml_type6ELS0_8ELb0EEvPKcS2_S2_S2_S2_PKiPfP15HIP_vector_typeIfLj2EEffffjfiS6_IjLj3EEiiiiiiiiiiiliiliiiiil
                                        ; -- End function
	.section	.AMDGPU.csdata,"",@progbits
; Kernel info:
; codeLenInByte = 14028
; NumSgprs: 72
; NumVgprs: 162
; NumAgprs: 0
; TotalNumVgprs: 162
; ScratchSize: 0
; MemoryBound: 0
; FloatMode: 240
; IeeeMode: 1
; LDSByteSize: 3584 bytes/workgroup (compile time only)
; SGPRBlocks: 8
; VGPRBlocks: 20
; NumSGPRsForWavesPerEU: 72
; NumVGPRsForWavesPerEU: 162
; AccumOffset: 164
; Occupancy: 3
; WaveLimiterHint : 0
; COMPUTE_PGM_RSRC2:SCRATCH_EN: 0
; COMPUTE_PGM_RSRC2:USER_SGPR: 8
; COMPUTE_PGM_RSRC2:TRAP_HANDLER: 0
; COMPUTE_PGM_RSRC2:TGID_X_EN: 1
; COMPUTE_PGM_RSRC2:TGID_Y_EN: 1
; COMPUTE_PGM_RSRC2:TGID_Z_EN: 1
; COMPUTE_PGM_RSRC2:TIDIG_COMP_CNT: 2
; COMPUTE_PGM_RSRC3_GFX90A:ACCUM_OFFSET: 40
; COMPUTE_PGM_RSRC3_GFX90A:TG_SPLIT: 0
	.section	.text._ZL25flash_attn_mask_to_KV_maxILi2EEvPK7__half2Piiii,"axG",@progbits,_ZL25flash_attn_mask_to_KV_maxILi2EEvPK7__half2Piiii,comdat
	.globl	_ZL25flash_attn_mask_to_KV_maxILi2EEvPK7__half2Piiii ; -- Begin function _ZL25flash_attn_mask_to_KV_maxILi2EEvPK7__half2Piiii
	.p2align	8
	.type	_ZL25flash_attn_mask_to_KV_maxILi2EEvPK7__half2Piiii,@function
_ZL25flash_attn_mask_to_KV_maxILi2EEvPK7__half2Piiii: ; @_ZL25flash_attn_mask_to_KV_maxILi2EEvPK7__half2Piiii
; %bb.0:
	s_load_dwordx4 s[8:11], s[4:5], 0x0
	v_cmp_gt_u32_e32 vcc, 32, v0
	s_and_saveexec_b64 s[0:1], vcc
	s_cbranch_execz .LBB10_2
; %bb.1:
	v_lshlrev_b32_e32 v1, 2, v0
	v_mov_b32_e32 v2, 1
	ds_write_b32 v1, v2
.LBB10_2:
	s_or_b64 exec, exec, s[0:1]
	s_load_dwordx4 s[12:15], s[4:5], 0x10
	s_load_dword s16, s[4:5], 0x20
	v_and_b32_e32 v2, 31, v0
	v_lshlrev_b32_e32 v4, 2, v2
	v_lshrrev_b32_e32 v1, 3, v0
	s_waitcnt lgkmcnt(0)
	s_mul_i32 s1, s6, s13
	s_mul_i32 s0, s7, s14
	s_lshl_b32 s1, s1, 1
	s_add_i32 s0, s0, s1
	s_ashr_i32 s1, s0, 31
	s_lshl_b64 s[0:1], s[0:1], 2
	s_add_u32 s17, s8, s0
	s_addc_u32 s18, s9, s1
	v_cmp_eq_u32_e64 s[0:1], 0, v2
	v_mbcnt_lo_u32_b32 v2, -1, 0
	v_mbcnt_hi_u32_b32 v5, -1, v2
	v_and_b32_e32 v2, 0x60, v5
	s_lshl_b32 s12, s12, 8
	s_mov_b64 s[4:5], 0
	v_mov_b32_e32 v3, 0
	s_movk_i32 s19, 0x204
	s_movk_i32 s20, 0x7fff
	;; [unrolled: 1-line block ×3, first 2 shown]
	v_add_u32_e32 v6, 32, v2
	v_xor_b32_e32 v7, 16, v5
	v_xor_b32_e32 v8, 8, v5
	;; [unrolled: 1-line block ×5, first 2 shown]
	s_barrier
	s_waitcnt lgkmcnt(0)
                                        ; implicit-def: $sgpr2_sgpr3
	s_branch .LBB10_5
.LBB10_3:                               ;   in Loop: Header=BB10_5 Depth=1
	s_or_b64 exec, exec, s[8:9]
	s_waitcnt lgkmcnt(0)
	s_barrier
	ds_read_b32 v16, v4
	s_waitcnt lgkmcnt(0)
	s_barrier
	ds_bpermute_b32 v2, v2, v16
	v_cmp_ne_u32_e32 vcc, 0, v16
	s_waitcnt lgkmcnt(0)
	v_cmp_ne_u32_e64 s[2:3], 0, v2
	s_and_b64 s[2:3], vcc, s[2:3]
	v_cndmask_b32_e64 v2, 0, 1, s[2:3]
	ds_bpermute_b32 v2, v12, v2
	s_waitcnt lgkmcnt(0)
	v_cmp_ne_u32_e32 vcc, 0, v2
	s_and_b64 s[2:3], vcc, s[2:3]
	v_cndmask_b32_e64 v2, 0, 1, s[2:3]
	ds_bpermute_b32 v2, v13, v2
	s_waitcnt lgkmcnt(0)
	v_cmp_ne_u32_e32 vcc, 0, v2
	;; [unrolled: 5-line block ×3, first 2 shown]
	s_and_b64 s[2:3], vcc, s[2:3]
	v_cndmask_b32_e64 v2, 0, 1, s[2:3]
	ds_bpermute_b32 v2, v15, v2
	s_xor_b64 s[2:3], s[2:3], -1
	s_waitcnt lgkmcnt(0)
	v_cmp_eq_u32_e32 vcc, 0, v2
	s_or_b64 s[2:3], vcc, s[2:3]
.LBB10_4:                               ;   in Loop: Header=BB10_5 Depth=1
	s_and_b64 s[8:9], exec, s[2:3]
	s_or_b64 s[4:5], s[8:9], s[4:5]
	v_mov_b32_e32 v2, s12
	s_mov_b32 s12, s22
	s_andn2_b64 exec, exec, s[4:5]
	s_cbranch_execz .LBB10_12
.LBB10_5:                               ; =>This Inner Loop Header: Depth=1
	s_add_i32 s22, s12, 0xffffff00
	s_or_b64 s[2:3], s[2:3], exec
	s_cmp_lt_i32 s22, 0
	s_cbranch_scc1 .LBB10_4
; %bb.6:                                ;   in Loop: Header=BB10_5 Depth=1
	s_lshr_b32 s2, s22, 1
	v_add_u32_e32 v2, s2, v0
	v_lshlrev_b64 v[12:13], 2, v[2:3]
	v_mov_b32_e32 v14, s18
	v_add_co_u32_e32 v12, vcc, s17, v12
	v_addc_co_u32_e32 v13, vcc, v14, v13, vcc
	global_load_dword v12, v[12:13], off
	s_mov_b64 s[8:9], 0
	s_waitcnt vmcnt(0)
	v_cmp_class_f16_e64 s[2:3], v12, s19
	v_and_b32_sdwa v12, s20, v12 dst_sel:DWORD dst_unused:UNUSED_PAD src0_sel:DWORD src1_sel:WORD_1
	v_cmp_eq_f16_e32 vcc, s21, v12
	s_and_b64 s[14:15], s[2:3], vcc
	s_and_saveexec_b64 s[2:3], s[14:15]
	s_cbranch_execz .LBB10_10
; %bb.7:                                ;   in Loop: Header=BB10_5 Depth=1
	v_add_u32_e32 v12, s13, v2
	v_ashrrev_i32_e32 v13, 31, v12
	v_lshlrev_b64 v[12:13], 2, v[12:13]
	v_mov_b32_e32 v2, s18
	v_add_co_u32_e32 v12, vcc, s17, v12
	v_addc_co_u32_e32 v13, vcc, v2, v13, vcc
	global_load_dword v2, v[12:13], off
	s_waitcnt vmcnt(0)
	v_cmp_class_f16_e64 s[24:25], v2, s19
	s_and_saveexec_b64 s[14:15], s[24:25]
; %bb.8:                                ;   in Loop: Header=BB10_5 Depth=1
	v_cmp_class_f16_sdwa s[8:9], v2, s19 src0_sel:WORD_1 src1_sel:DWORD
	s_and_b64 s[8:9], s[8:9], exec
; %bb.9:                                ;   in Loop: Header=BB10_5 Depth=1
	s_or_b64 exec, exec, s[14:15]
	s_and_b64 s[8:9], s[8:9], exec
.LBB10_10:                              ;   in Loop: Header=BB10_5 Depth=1
	s_or_b64 exec, exec, s[2:3]
	v_cmp_lt_i32_e32 vcc, v7, v6
	v_cndmask_b32_e32 v2, v5, v7, vcc
	v_cndmask_b32_e64 v12, 0, 1, s[8:9]
	v_lshlrev_b32_e32 v2, 2, v2
	ds_bpermute_b32 v12, v2, v12
	s_waitcnt lgkmcnt(0)
	v_cmp_ne_u32_e32 vcc, 0, v12
	s_and_b64 s[2:3], s[8:9], vcc
	v_cmp_lt_i32_e32 vcc, v8, v6
	v_cndmask_b32_e32 v12, v5, v8, vcc
	v_cndmask_b32_e64 v13, 0, 1, s[2:3]
	v_lshlrev_b32_e32 v12, 2, v12
	ds_bpermute_b32 v13, v12, v13
	s_waitcnt lgkmcnt(0)
	v_cmp_ne_u32_e32 vcc, 0, v13
	s_and_b64 s[2:3], vcc, s[2:3]
	v_cmp_lt_i32_e32 vcc, v9, v6
	v_cndmask_b32_e32 v13, v5, v9, vcc
	v_cndmask_b32_e64 v14, 0, 1, s[2:3]
	v_lshlrev_b32_e32 v13, 2, v13
	ds_bpermute_b32 v14, v13, v14
	s_waitcnt lgkmcnt(0)
	v_cmp_ne_u32_e32 vcc, 0, v14
	s_and_b64 s[2:3], vcc, s[2:3]
	;; [unrolled: 8-line block ×3, first 2 shown]
	v_cmp_lt_i32_e32 vcc, v11, v6
	v_cndmask_b32_e32 v15, v5, v11, vcc
	v_cndmask_b32_e64 v16, 0, 1, s[2:3]
	v_lshlrev_b32_e32 v15, 2, v15
	ds_bpermute_b32 v16, v15, v16
	s_and_saveexec_b64 s[8:9], s[0:1]
	s_cbranch_execz .LBB10_3
; %bb.11:                               ;   in Loop: Header=BB10_5 Depth=1
	s_waitcnt lgkmcnt(0)
	v_cmp_ne_u32_e32 vcc, 0, v16
	s_and_b64 s[2:3], vcc, s[2:3]
	v_cndmask_b32_e64 v16, 0, 1, s[2:3]
	ds_write_b32 v1, v16
	s_branch .LBB10_3
.LBB10_12:
	s_or_b64 exec, exec, s[4:5]
	v_cmp_eq_u32_e32 vcc, 0, v0
	s_and_saveexec_b64 s[0:1], vcc
	s_cbranch_execz .LBB10_14
; %bb.13:
	s_mul_i32 s0, s16, s7
	s_add_i32 s0, s0, s6
	s_ashr_i32 s1, s0, 31
	s_lshl_b64 s[0:1], s[0:1], 2
	s_add_u32 s0, s10, s0
	s_addc_u32 s1, s11, s1
	v_mov_b32_e32 v0, 0
	global_store_dword v0, v2, s[0:1]
.LBB10_14:
	s_endpgm
	.section	.rodata,"a",@progbits
	.p2align	6, 0x0
	.amdhsa_kernel _ZL25flash_attn_mask_to_KV_maxILi2EEvPK7__half2Piiii
		.amdhsa_group_segment_fixed_size 128
		.amdhsa_private_segment_fixed_size 0
		.amdhsa_kernarg_size 288
		.amdhsa_user_sgpr_count 6
		.amdhsa_user_sgpr_private_segment_buffer 1
		.amdhsa_user_sgpr_dispatch_ptr 0
		.amdhsa_user_sgpr_queue_ptr 0
		.amdhsa_user_sgpr_kernarg_segment_ptr 1
		.amdhsa_user_sgpr_dispatch_id 0
		.amdhsa_user_sgpr_flat_scratch_init 0
		.amdhsa_user_sgpr_kernarg_preload_length 0
		.amdhsa_user_sgpr_kernarg_preload_offset 0
		.amdhsa_user_sgpr_private_segment_size 0
		.amdhsa_uses_dynamic_stack 0
		.amdhsa_system_sgpr_private_segment_wavefront_offset 0
		.amdhsa_system_sgpr_workgroup_id_x 1
		.amdhsa_system_sgpr_workgroup_id_y 1
		.amdhsa_system_sgpr_workgroup_id_z 0
		.amdhsa_system_sgpr_workgroup_info 0
		.amdhsa_system_vgpr_workitem_id 0
		.amdhsa_next_free_vgpr 17
		.amdhsa_next_free_sgpr 26
		.amdhsa_accum_offset 20
		.amdhsa_reserve_vcc 1
		.amdhsa_reserve_flat_scratch 0
		.amdhsa_float_round_mode_32 0
		.amdhsa_float_round_mode_16_64 0
		.amdhsa_float_denorm_mode_32 3
		.amdhsa_float_denorm_mode_16_64 3
		.amdhsa_dx10_clamp 1
		.amdhsa_ieee_mode 1
		.amdhsa_fp16_overflow 0
		.amdhsa_tg_split 0
		.amdhsa_exception_fp_ieee_invalid_op 0
		.amdhsa_exception_fp_denorm_src 0
		.amdhsa_exception_fp_ieee_div_zero 0
		.amdhsa_exception_fp_ieee_overflow 0
		.amdhsa_exception_fp_ieee_underflow 0
		.amdhsa_exception_fp_ieee_inexact 0
		.amdhsa_exception_int_div_zero 0
	.end_amdhsa_kernel
	.section	.text._ZL25flash_attn_mask_to_KV_maxILi2EEvPK7__half2Piiii,"axG",@progbits,_ZL25flash_attn_mask_to_KV_maxILi2EEvPK7__half2Piiii,comdat
.Lfunc_end10:
	.size	_ZL25flash_attn_mask_to_KV_maxILi2EEvPK7__half2Piiii, .Lfunc_end10-_ZL25flash_attn_mask_to_KV_maxILi2EEvPK7__half2Piiii
                                        ; -- End function
	.section	.AMDGPU.csdata,"",@progbits
; Kernel info:
; codeLenInByte = 848
; NumSgprs: 30
; NumVgprs: 17
; NumAgprs: 0
; TotalNumVgprs: 17
; ScratchSize: 0
; MemoryBound: 0
; FloatMode: 240
; IeeeMode: 1
; LDSByteSize: 128 bytes/workgroup (compile time only)
; SGPRBlocks: 3
; VGPRBlocks: 2
; NumSGPRsForWavesPerEU: 30
; NumVGPRsForWavesPerEU: 17
; AccumOffset: 20
; Occupancy: 8
; WaveLimiterHint : 0
; COMPUTE_PGM_RSRC2:SCRATCH_EN: 0
; COMPUTE_PGM_RSRC2:USER_SGPR: 6
; COMPUTE_PGM_RSRC2:TRAP_HANDLER: 0
; COMPUTE_PGM_RSRC2:TGID_X_EN: 1
; COMPUTE_PGM_RSRC2:TGID_Y_EN: 1
; COMPUTE_PGM_RSRC2:TGID_Z_EN: 0
; COMPUTE_PGM_RSRC2:TIDIG_COMP_CNT: 0
; COMPUTE_PGM_RSRC3_GFX90A:ACCUM_OFFSET: 4
; COMPUTE_PGM_RSRC3_GFX90A:TG_SPLIT: 0
	.section	.text._ZL33flash_attn_stream_k_fixup_uniformILi64ELi2ELi1EEvPfPK15HIP_vector_typeIfLj2EEiiiiiiS1_IjLj3EES5_S5_,"axG",@progbits,_ZL33flash_attn_stream_k_fixup_uniformILi64ELi2ELi1EEvPfPK15HIP_vector_typeIfLj2EEiiiiiiS1_IjLj3EES5_S5_,comdat
	.globl	_ZL33flash_attn_stream_k_fixup_uniformILi64ELi2ELi1EEvPfPK15HIP_vector_typeIfLj2EEiiiiiiS1_IjLj3EES5_S5_ ; -- Begin function _ZL33flash_attn_stream_k_fixup_uniformILi64ELi2ELi1EEvPfPK15HIP_vector_typeIfLj2EEiiiiiiS1_IjLj3EES5_S5_
	.p2align	8
	.type	_ZL33flash_attn_stream_k_fixup_uniformILi64ELi2ELi1EEvPfPK15HIP_vector_typeIfLj2EEiiiiiiS1_IjLj3EES5_S5_,@function
_ZL33flash_attn_stream_k_fixup_uniformILi64ELi2ELi1EEvPfPK15HIP_vector_typeIfLj2EEiiiiiiS1_IjLj3EES5_S5_: ; @_ZL33flash_attn_stream_k_fixup_uniformILi64ELi2ELi1EEvPfPK15HIP_vector_typeIfLj2EEiiiiiiS1_IjLj3EES5_S5_
; %bb.0:
	s_load_dwordx8 s[12:19], s[4:5], 0x1c
	s_load_dwordx2 s[10:11], s[4:5], 0x10
	s_load_dwordx4 s[0:3], s[4:5], 0x3c
	s_waitcnt lgkmcnt(0)
	s_mul_hi_u32 s9, s15, s6
	s_add_i32 s9, s6, s9
	s_lshr_b32 s9, s9, s16
	s_mul_i32 s15, s9, s17
	s_sub_i32 s15, s6, s15
	s_mul_hi_u32 s16, s15, s18
	s_add_i32 s16, s15, s16
	s_lshr_b32 s16, s16, s19
	s_mul_i32 s0, s16, s0
	s_sub_i32 s0, s15, s0
	;; [unrolled: 5-line block ×3, first 2 shown]
	s_lshl_b32 s0, s17, 1
	s_add_i32 s0, s0, s7
	s_cmp_lt_i32 s0, s10
	s_cselect_b64 s[0:1], -1, 0
	s_add_i32 s2, s15, s8
	s_cmp_lt_i32 s2, s13
	s_cselect_b64 s[2:3], -1, 0
	s_and_b64 s[0:1], s[0:1], s[2:3]
	s_andn2_b64 vcc, exec, s[0:1]
	s_cbranch_vccnz .LBB11_6
; %bb.1:
	s_load_dwordx4 s[0:3], s[4:5], 0x0
	s_mul_i32 s4, s9, s10
	s_add_i32 s4, s4, s7
	s_mul_i32 s4, s4, s11
	s_mul_i32 s16, s16, s13
	s_add_i32 s4, s4, s8
	s_add_i32 s4, s4, s16
	s_mul_i32 s5, s11, s17
	s_add_i32 s4, s4, s15
	s_lshl_b32 s5, s5, 7
	s_lshl_b32 s4, s4, 6
	s_add_i32 s5, s5, s4
	v_or_b32_e32 v2, s5, v0
	v_ashrrev_i32_e32 v3, 31, v2
	v_lshlrev_b64 v[2:3], 2, v[2:3]
	s_waitcnt lgkmcnt(0)
	v_mov_b32_e32 v1, s1
	v_add_co_u32_e32 v2, vcc, s0, v2
	v_addc_co_u32_e32 v3, vcc, v1, v3, vcc
	global_load_dword v8, v[2:3], off
	s_add_i32 s4, s7, s8
	s_mul_i32 s7, s6, s14
	s_add_i32 s5, s7, s14
	s_lshl_b32 s0, s5, 1
	s_add_i32 s0, s4, s0
	s_add_i32 s0, s0, -2
	s_ashr_i32 s1, s0, 31
	s_lshl_b64 s[0:1], s[0:1], 3
	s_add_u32 s0, s2, s0
	s_addc_u32 s1, s3, s1
	s_load_dword s10, s[0:1], 0x4
	s_add_i32 s8, s5, -2
	s_cmp_lt_i32 s8, s7
	s_cbranch_scc1 .LBB11_4
; %bb.2:
	s_lshl_b32 s8, s12, 3
	s_ashr_i32 s9, s8, 31
	s_lshl_b64 s[8:9], s[8:9], 2
	s_add_u32 s8, s2, s8
	s_addc_u32 s11, s3, s9
	s_add_i32 s6, s6, 1
	s_add_i32 s9, s5, -1
	s_mul_i32 s5, s14, s6
	s_load_dword s0, s[0:1], 0x0
	s_lshl_b32 s1, s4, 6
	s_lshl_b32 s6, s5, 7
	s_add_i32 s1, s1, s6
	v_or_b32_e32 v0, s1, v0
	s_lshl_b32 s1, s5, 1
	s_add_i32 s1, s4, s1
	s_lshl_b32 s4, s12, 1
	s_add_i32 s1, s1, s4
	v_add_u32_e32 v0, 0xffffff00, v0
	s_add_i32 s4, s1, -4
	s_waitcnt lgkmcnt(0)
	v_mov_b32_e32 v7, s10
	v_mov_b32_e32 v6, s0
	;; [unrolled: 1-line block ×3, first 2 shown]
	s_mov_b32 s6, 0x3fb8aa3b
	s_mov_b32 s10, 0xc2ce8ed0
	s_mov_b32 s11, 0x42b17218
	v_mov_b32_e32 v5, 0x7f800000
	s_mov_b32 s12, 0xc1a00000
.LBB11_3:                               ; =>This Inner Loop Header: Depth=1
	v_ashrrev_i32_e32 v1, 31, v0
	v_lshlrev_b64 v[10:11], 2, v[0:1]
	v_add_co_u32_e32 v10, vcc, s8, v10
	v_addc_co_u32_e32 v11, vcc, v4, v11, vcc
	global_load_dword v1, v[10:11], off
	s_ashr_i32 s5, s4, 31
	s_lshl_b64 s[0:1], s[4:5], 3
	s_add_u32 s0, s2, s0
	s_addc_u32 s1, s3, s1
	s_load_dwordx2 s[14:15], s[0:1], 0x0
	s_waitcnt vmcnt(1)
	v_mov_b32_e32 v9, v8
	v_max_f32_e32 v8, v6, v6
	v_mov_b32_e32 v10, v7
	s_add_i32 s9, s9, -1
	s_waitcnt lgkmcnt(0)
	v_max_f32_e64 v7, s14, s14
	v_max_f32_e32 v7, v8, v7
	v_sub_f32_e32 v11, s14, v7
	v_sub_f32_e32 v8, v6, v7
	v_mul_f32_e32 v12, 0x3fb8aa3b, v11
	v_mov_b32_e32 v6, v7
	v_mul_f32_e32 v7, 0x3fb8aa3b, v8
	v_fma_f32 v15, v11, s6, -v12
	v_rndne_f32_e32 v16, v12
	v_fma_f32 v13, v8, s6, -v7
	v_rndne_f32_e32 v14, v7
	v_fmac_f32_e32 v15, 0x32a5705f, v11
	v_sub_f32_e32 v12, v12, v16
	v_fmac_f32_e32 v13, 0x32a5705f, v8
	v_sub_f32_e32 v7, v7, v14
	v_add_f32_e32 v12, v12, v15
	v_cvt_i32_f32_e32 v16, v16
	v_add_f32_e32 v7, v7, v13
	v_exp_f32_e32 v12, v12
	v_cvt_i32_f32_e32 v14, v14
	v_exp_f32_e32 v7, v7
	v_cmp_ngt_f32_e32 vcc, s10, v11
	v_ldexp_f32 v12, v12, v16
	v_cmp_ngt_f32_e64 s[0:1], s10, v8
	v_ldexp_f32 v7, v7, v14
	v_cndmask_b32_e32 v12, 0, v12, vcc
	v_cmp_nlt_f32_e32 vcc, s11, v11
	v_cndmask_b32_e64 v7, 0, v7, s[0:1]
	v_cmp_nlt_f32_e64 s[0:1], s11, v8
	v_cndmask_b32_e32 v12, v5, v12, vcc
	v_cmp_le_f32_e32 vcc, s12, v11
	v_cndmask_b32_e64 v7, v5, v7, s[0:1]
	v_cmp_le_f32_e64 s[0:1], s12, v8
	v_cndmask_b32_e32 v8, 0, v12, vcc
	s_add_i32 s4, s4, -2
	v_cndmask_b32_e64 v11, 0, v7, s[0:1]
	v_mul_f32_e32 v7, s15, v8
	v_add_u32_e32 v0, 0xffffff80, v0
	s_cmp_le_i32 s9, s7
	v_fmac_f32_e32 v7, v10, v11
	s_waitcnt vmcnt(0)
	v_mul_f32_e32 v8, v1, v8
	v_fmac_f32_e32 v8, v9, v11
	s_cbranch_scc0 .LBB11_3
	s_branch .LBB11_5
.LBB11_4:
	s_waitcnt lgkmcnt(0)
	v_mov_b32_e32 v7, s10
.LBB11_5:
	s_waitcnt vmcnt(0)
	v_div_scale_f32 v0, s[0:1], v7, v7, v8
	v_rcp_f32_e32 v1, v0
	v_div_scale_f32 v4, vcc, v8, v7, v8
	v_fma_f32 v5, -v0, v1, 1.0
	v_fmac_f32_e32 v1, v5, v1
	v_mul_f32_e32 v5, v4, v1
	v_fma_f32 v6, -v0, v5, v4
	v_fmac_f32_e32 v5, v6, v1
	v_fma_f32 v0, -v0, v5, v4
	v_div_fmas_f32 v0, v0, v1, v5
	v_div_fixup_f32 v0, v0, v7, v8
	global_store_dword v[2:3], v0, off
.LBB11_6:
	s_endpgm
	.section	.rodata,"a",@progbits
	.p2align	6, 0x0
	.amdhsa_kernel _ZL33flash_attn_stream_k_fixup_uniformILi64ELi2ELi1EEvPfPK15HIP_vector_typeIfLj2EEiiiiiiS1_IjLj3EES5_S5_
		.amdhsa_group_segment_fixed_size 0
		.amdhsa_private_segment_fixed_size 0
		.amdhsa_kernarg_size 76
		.amdhsa_user_sgpr_count 6
		.amdhsa_user_sgpr_private_segment_buffer 1
		.amdhsa_user_sgpr_dispatch_ptr 0
		.amdhsa_user_sgpr_queue_ptr 0
		.amdhsa_user_sgpr_kernarg_segment_ptr 1
		.amdhsa_user_sgpr_dispatch_id 0
		.amdhsa_user_sgpr_flat_scratch_init 0
		.amdhsa_user_sgpr_kernarg_preload_length 0
		.amdhsa_user_sgpr_kernarg_preload_offset 0
		.amdhsa_user_sgpr_private_segment_size 0
		.amdhsa_uses_dynamic_stack 0
		.amdhsa_system_sgpr_private_segment_wavefront_offset 0
		.amdhsa_system_sgpr_workgroup_id_x 1
		.amdhsa_system_sgpr_workgroup_id_y 1
		.amdhsa_system_sgpr_workgroup_id_z 1
		.amdhsa_system_sgpr_workgroup_info 0
		.amdhsa_system_vgpr_workitem_id 0
		.amdhsa_next_free_vgpr 17
		.amdhsa_next_free_sgpr 20
		.amdhsa_accum_offset 20
		.amdhsa_reserve_vcc 1
		.amdhsa_reserve_flat_scratch 0
		.amdhsa_float_round_mode_32 0
		.amdhsa_float_round_mode_16_64 0
		.amdhsa_float_denorm_mode_32 3
		.amdhsa_float_denorm_mode_16_64 3
		.amdhsa_dx10_clamp 1
		.amdhsa_ieee_mode 1
		.amdhsa_fp16_overflow 0
		.amdhsa_tg_split 0
		.amdhsa_exception_fp_ieee_invalid_op 0
		.amdhsa_exception_fp_denorm_src 0
		.amdhsa_exception_fp_ieee_div_zero 0
		.amdhsa_exception_fp_ieee_overflow 0
		.amdhsa_exception_fp_ieee_underflow 0
		.amdhsa_exception_fp_ieee_inexact 0
		.amdhsa_exception_int_div_zero 0
	.end_amdhsa_kernel
	.section	.text._ZL33flash_attn_stream_k_fixup_uniformILi64ELi2ELi1EEvPfPK15HIP_vector_typeIfLj2EEiiiiiiS1_IjLj3EES5_S5_,"axG",@progbits,_ZL33flash_attn_stream_k_fixup_uniformILi64ELi2ELi1EEvPfPK15HIP_vector_typeIfLj2EEiiiiiiS1_IjLj3EES5_S5_,comdat
.Lfunc_end11:
	.size	_ZL33flash_attn_stream_k_fixup_uniformILi64ELi2ELi1EEvPfPK15HIP_vector_typeIfLj2EEiiiiiiS1_IjLj3EES5_S5_, .Lfunc_end11-_ZL33flash_attn_stream_k_fixup_uniformILi64ELi2ELi1EEvPfPK15HIP_vector_typeIfLj2EEiiiiiiS1_IjLj3EES5_S5_
                                        ; -- End function
	.section	.AMDGPU.csdata,"",@progbits
; Kernel info:
; codeLenInByte = 836
; NumSgprs: 24
; NumVgprs: 17
; NumAgprs: 0
; TotalNumVgprs: 17
; ScratchSize: 0
; MemoryBound: 0
; FloatMode: 240
; IeeeMode: 1
; LDSByteSize: 0 bytes/workgroup (compile time only)
; SGPRBlocks: 2
; VGPRBlocks: 2
; NumSGPRsForWavesPerEU: 24
; NumVGPRsForWavesPerEU: 17
; AccumOffset: 20
; Occupancy: 8
; WaveLimiterHint : 0
; COMPUTE_PGM_RSRC2:SCRATCH_EN: 0
; COMPUTE_PGM_RSRC2:USER_SGPR: 6
; COMPUTE_PGM_RSRC2:TRAP_HANDLER: 0
; COMPUTE_PGM_RSRC2:TGID_X_EN: 1
; COMPUTE_PGM_RSRC2:TGID_Y_EN: 1
; COMPUTE_PGM_RSRC2:TGID_Z_EN: 1
; COMPUTE_PGM_RSRC2:TIDIG_COMP_CNT: 0
; COMPUTE_PGM_RSRC3_GFX90A:ACCUM_OFFSET: 4
; COMPUTE_PGM_RSRC3_GFX90A:TG_SPLIT: 0
	.section	.text._ZL33flash_attn_stream_k_fixup_generalILi64ELi2ELi1EEvPfPK15HIP_vector_typeIfLj2EEiiiiS1_IjLj3EES5_S5_S5_,"axG",@progbits,_ZL33flash_attn_stream_k_fixup_generalILi64ELi2ELi1EEvPfPK15HIP_vector_typeIfLj2EEiiiiS1_IjLj3EES5_S5_S5_,comdat
	.globl	_ZL33flash_attn_stream_k_fixup_generalILi64ELi2ELi1EEvPfPK15HIP_vector_typeIfLj2EEiiiiS1_IjLj3EES5_S5_S5_ ; -- Begin function _ZL33flash_attn_stream_k_fixup_generalILi64ELi2ELi1EEvPfPK15HIP_vector_typeIfLj2EEiiiiS1_IjLj3EES5_S5_S5_
	.p2align	8
	.type	_ZL33flash_attn_stream_k_fixup_generalILi64ELi2ELi1EEvPfPK15HIP_vector_typeIfLj2EEiiiiS1_IjLj3EES5_S5_S5_,@function
_ZL33flash_attn_stream_k_fixup_generalILi64ELi2ELi1EEvPfPK15HIP_vector_typeIfLj2EEiiiiS1_IjLj3EES5_S5_S5_: ; @_ZL33flash_attn_stream_k_fixup_generalILi64ELi2ELi1EEvPfPK15HIP_vector_typeIfLj2EEiiiiS1_IjLj3EES5_S5_S5_
; %bb.0:
	s_load_dwordx4 s[12:15], s[4:5], 0x10
	s_load_dword s9, s[4:5], 0x50
	s_mov_b32 s2, 0
	s_waitcnt lgkmcnt(0)
	s_mul_hi_i32 s3, s15, s6
	s_cmp_lg_u64 s[2:3], 0
	s_mul_i32 s2, s15, s6
	s_cbranch_scc0 .LBB12_21
; %bb.1:
	v_cvt_f32_u32_e32 v1, s9
	v_cvt_f32_ubyte0_e32 v2, 0
	s_sub_u32 s10, 0, s9
	s_subb_u32 s11, 0, 0
	v_madmk_f32 v1, v2, 0x4f800000, v1
	v_rcp_f32_e32 v1, v1
	v_mul_f32_e32 v1, 0x5f7ffffc, v1
	v_mul_f32_e32 v2, 0x2f800000, v1
	v_trunc_f32_e32 v2, v2
	v_madmk_f32 v1, v2, 0xcf800000, v1
	v_cvt_u32_f32_e32 v2, v2
	v_cvt_u32_f32_e32 v1, v1
	v_readfirstlane_b32 s16, v2
	v_readfirstlane_b32 s17, v1
	s_mul_i32 s18, s10, s16
	s_mul_hi_u32 s20, s10, s17
	s_mul_i32 s19, s11, s17
	s_add_i32 s18, s20, s18
	s_add_i32 s18, s18, s19
	s_mul_i32 s21, s10, s17
	s_mul_hi_u32 s19, s17, s18
	s_mul_i32 s20, s17, s18
	s_mul_hi_u32 s17, s17, s21
	s_add_u32 s17, s17, s20
	s_addc_u32 s19, 0, s19
	s_mul_hi_u32 s22, s16, s21
	s_mul_i32 s21, s16, s21
	s_add_u32 s17, s17, s21
	s_mul_hi_u32 s20, s16, s18
	s_addc_u32 s17, s19, s22
	s_addc_u32 s19, s20, 0
	s_mul_i32 s18, s16, s18
	s_add_u32 s17, s17, s18
	s_addc_u32 s18, 0, s19
	v_add_co_u32_e32 v1, vcc, s17, v1
	s_cmp_lg_u64 vcc, 0
	s_addc_u32 s16, s16, s18
	v_readfirstlane_b32 s18, v1
	s_mul_i32 s17, s10, s16
	s_mul_hi_u32 s19, s10, s18
	s_add_i32 s17, s19, s17
	s_mul_i32 s11, s11, s18
	s_add_i32 s17, s17, s11
	s_mul_i32 s10, s10, s18
	s_mul_hi_u32 s19, s16, s10
	s_mul_i32 s20, s16, s10
	s_mul_i32 s22, s18, s17
	s_mul_hi_u32 s10, s18, s10
	s_mul_hi_u32 s21, s18, s17
	s_add_u32 s10, s10, s22
	s_addc_u32 s18, 0, s21
	s_add_u32 s10, s10, s20
	s_mul_hi_u32 s11, s16, s17
	s_addc_u32 s10, s18, s19
	s_addc_u32 s11, s11, 0
	s_mul_i32 s17, s16, s17
	s_add_u32 s10, s10, s17
	s_addc_u32 s11, 0, s11
	v_add_co_u32_e32 v1, vcc, s10, v1
	s_cmp_lg_u64 vcc, 0
	s_addc_u32 s18, s16, s11
	s_ashr_i32 s10, s3, 31
	s_add_u32 s16, s2, s10
	s_mov_b32 s11, s10
	s_addc_u32 s17, s3, s10
	s_xor_b64 s[16:17], s[16:17], s[10:11]
	v_readfirstlane_b32 s20, v1
	s_mul_i32 s19, s16, s18
	s_mul_hi_u32 s21, s16, s20
	s_mul_hi_u32 s3, s16, s18
	s_add_u32 s19, s21, s19
	s_addc_u32 s3, 0, s3
	s_mul_hi_u32 s22, s17, s20
	s_mul_i32 s20, s17, s20
	s_add_u32 s19, s19, s20
	s_mul_hi_u32 s21, s17, s18
	s_addc_u32 s3, s3, s22
	s_addc_u32 s19, s21, 0
	s_mul_i32 s18, s17, s18
	s_add_u32 s3, s3, s18
	s_addc_u32 s18, 0, s19
	s_add_u32 s19, s3, 1
	s_addc_u32 s20, s18, 0
	s_add_u32 s21, s3, 2
	s_mul_i32 s23, s9, s18
	s_mul_hi_u32 s24, s9, s3
	s_addc_u32 s22, s18, 0
	s_add_i32 s24, s24, s23
	s_mul_i32 s23, s9, s3
	v_mov_b32_e32 v1, s23
	v_sub_co_u32_e32 v1, vcc, s16, v1
	s_cmp_lg_u64 vcc, 0
	s_subb_u32 s16, s17, s24
	v_subrev_co_u32_e32 v2, vcc, s9, v1
	s_cmp_lg_u64 vcc, 0
	s_subb_u32 s17, s16, 0
	v_readfirstlane_b32 s23, v2
	s_cmp_ge_u32 s23, s9
	s_cselect_b32 s23, -1, 0
	s_cmp_eq_u32 s17, 0
	s_cselect_b32 s17, s23, -1
	s_cmp_lg_u32 s17, 0
	s_cselect_b32 s17, s22, s20
	v_readfirstlane_b32 s20, v1
	s_cselect_b32 s19, s21, s19
	s_cmp_ge_u32 s20, s9
	s_cselect_b32 s20, -1, 0
	s_cmp_eq_u32 s16, 0
	s_cselect_b32 s16, s20, -1
	s_cmp_lg_u32 s16, 0
	s_cselect_b32 s17, s17, s18
	s_cselect_b32 s16, s19, s3
	s_xor_b64 s[16:17], s[16:17], s[10:11]
	s_sub_u32 s20, s16, s10
	s_load_dwordx4 s[16:19], s[4:5], 0x44
	s_cbranch_execnz .LBB12_3
.LBB12_2:
	v_cvt_f32_u32_e32 v1, s9
	s_sub_i32 s0, 0, s9
	v_rcp_iflag_f32_e32 v1, v1
	v_mul_f32_e32 v1, 0x4f7ffffe, v1
	v_cvt_u32_f32_e32 v1, v1
	v_readfirstlane_b32 s1, v1
	s_mul_i32 s0, s0, s1
	s_mul_hi_u32 s0, s1, s0
	s_add_i32 s1, s1, s0
	s_mul_hi_u32 s0, s2, s1
	s_mul_i32 s3, s0, s9
	s_sub_i32 s2, s2, s3
	s_add_i32 s1, s0, 1
	s_sub_i32 s3, s2, s9
	s_cmp_ge_u32 s2, s9
	s_cselect_b32 s0, s1, s0
	s_cselect_b32 s2, s3, s2
	s_add_i32 s1, s0, 1
	s_cmp_ge_u32 s2, s9
	s_cselect_b32 s20, s1, s0
.LBB12_3:
	s_add_i32 s0, s6, 1
	s_mul_hi_i32 s3, s15, s0
	s_mov_b32 s2, 0
	s_cmp_lg_u64 s[2:3], 0
	s_mul_i32 s2, s15, s0
	s_cbranch_scc0 .LBB12_22
; %bb.4:
	v_cvt_f32_u32_e32 v1, s9
	v_cvt_f32_ubyte0_e32 v2, 0
	s_sub_u32 s10, 0, s9
	s_subb_u32 s11, 0, 0
	v_madmk_f32 v1, v2, 0x4f800000, v1
	v_rcp_f32_e32 v1, v1
	v_mul_f32_e32 v1, 0x5f7ffffc, v1
	v_mul_f32_e32 v2, 0x2f800000, v1
	v_trunc_f32_e32 v2, v2
	v_madmk_f32 v1, v2, 0xcf800000, v1
	v_cvt_u32_f32_e32 v2, v2
	v_cvt_u32_f32_e32 v1, v1
	s_waitcnt lgkmcnt(0)
	v_readfirstlane_b32 s19, v2
	v_readfirstlane_b32 s21, v1
	s_mul_i32 s22, s10, s19
	s_mul_hi_u32 s24, s10, s21
	s_mul_i32 s23, s11, s21
	s_add_i32 s22, s24, s22
	s_add_i32 s22, s22, s23
	s_mul_i32 s25, s10, s21
	s_mul_hi_u32 s23, s21, s22
	s_mul_i32 s24, s21, s22
	s_mul_hi_u32 s21, s21, s25
	s_add_u32 s21, s21, s24
	s_addc_u32 s23, 0, s23
	s_mul_hi_u32 s26, s19, s25
	s_mul_i32 s25, s19, s25
	s_add_u32 s21, s21, s25
	s_mul_hi_u32 s24, s19, s22
	s_addc_u32 s21, s23, s26
	s_addc_u32 s23, s24, 0
	s_mul_i32 s22, s19, s22
	s_add_u32 s21, s21, s22
	s_addc_u32 s22, 0, s23
	v_add_co_u32_e32 v1, vcc, s21, v1
	s_cmp_lg_u64 vcc, 0
	s_addc_u32 s19, s19, s22
	v_readfirstlane_b32 s22, v1
	s_mul_i32 s21, s10, s19
	s_mul_hi_u32 s23, s10, s22
	s_add_i32 s21, s23, s21
	s_mul_i32 s11, s11, s22
	s_add_i32 s21, s21, s11
	s_mul_i32 s10, s10, s22
	s_mul_hi_u32 s23, s19, s10
	s_mul_i32 s24, s19, s10
	s_mul_i32 s26, s22, s21
	s_mul_hi_u32 s10, s22, s10
	s_mul_hi_u32 s25, s22, s21
	s_add_u32 s10, s10, s26
	s_addc_u32 s22, 0, s25
	s_add_u32 s10, s10, s24
	s_mul_hi_u32 s11, s19, s21
	s_addc_u32 s10, s22, s23
	s_addc_u32 s11, s11, 0
	s_mul_i32 s21, s19, s21
	s_add_u32 s10, s10, s21
	s_addc_u32 s11, 0, s11
	v_add_co_u32_e32 v1, vcc, s10, v1
	s_cmp_lg_u64 vcc, 0
	s_addc_u32 s19, s19, s11
	s_ashr_i32 s10, s3, 31
	s_add_u32 s22, s2, s10
	s_mov_b32 s11, s10
	s_addc_u32 s23, s3, s10
	s_xor_b64 s[22:23], s[22:23], s[10:11]
	v_readfirstlane_b32 s21, v1
	s_mul_i32 s11, s22, s19
	s_mul_hi_u32 s24, s22, s21
	s_mul_hi_u32 s3, s22, s19
	s_add_u32 s11, s24, s11
	s_addc_u32 s3, 0, s3
	s_mul_hi_u32 s25, s23, s21
	s_mul_i32 s21, s23, s21
	s_add_u32 s11, s11, s21
	s_mul_hi_u32 s24, s23, s19
	s_addc_u32 s3, s3, s25
	s_addc_u32 s11, s24, 0
	s_mul_i32 s19, s23, s19
	s_add_u32 s3, s3, s19
	s_addc_u32 s11, 0, s11
	s_mul_i32 s11, s9, s11
	s_mul_hi_u32 s24, s9, s3
	s_add_i32 s24, s24, s11
	s_mul_i32 s11, s9, s3
	v_mov_b32_e32 v1, s11
	s_add_u32 s19, s3, 1
	s_add_u32 s21, s3, 2
	v_sub_co_u32_e32 v1, vcc, s22, v1
	s_cmp_lg_u64 vcc, 0
	s_subb_u32 s11, s23, s24
	v_subrev_co_u32_e32 v2, vcc, s9, v1
	s_cmp_lg_u64 vcc, 0
	s_subb_u32 s22, s11, 0
	v_cmp_le_u32_e32 vcc, s9, v2
	s_cmp_eq_u32 s22, 0
	v_cndmask_b32_e64 v2, 0, -1, vcc
	s_cselect_b64 vcc, -1, 0
	v_cndmask_b32_e32 v2, -1, v2, vcc
	v_mov_b32_e32 v3, s19
	v_mov_b32_e32 v4, s21
	v_cmp_ne_u32_e32 vcc, 0, v2
	v_cndmask_b32_e32 v2, v3, v4, vcc
	v_cmp_le_u32_e32 vcc, s9, v1
	s_cmp_eq_u32 s11, 0
	v_cndmask_b32_e64 v1, 0, -1, vcc
	s_cselect_b64 vcc, -1, 0
	v_cndmask_b32_e32 v1, -1, v1, vcc
	v_mov_b32_e32 v3, s3
	v_cmp_ne_u32_e32 vcc, 0, v1
	v_cndmask_b32_e32 v1, v3, v2, vcc
	v_xor_b32_e32 v1, s10, v1
	v_subrev_co_u32_e32 v2, vcc, s10, v1
	s_cbranch_execnz .LBB12_6
.LBB12_5:
	v_cvt_f32_u32_e32 v1, s9
	s_sub_i32 s0, 0, s9
	s_mov_b32 s1, 0
	v_rcp_iflag_f32_e32 v1, v1
	v_mul_f32_e32 v1, 0x4f7ffffe, v1
	v_cvt_u32_f32_e32 v1, v1
	v_readfirstlane_b32 s3, v1
	s_mul_i32 s0, s0, s3
	s_mul_hi_u32 s0, s3, s0
	s_add_i32 s3, s3, s0
	s_mul_hi_u32 s0, s2, s3
	s_mul_i32 s10, s0, s9
	s_sub_i32 s2, s2, s10
	s_add_i32 s3, s0, 1
	s_sub_i32 s10, s2, s9
	s_cmp_ge_u32 s2, s9
	s_cselect_b32 s0, s3, s0
	s_cselect_b32 s2, s10, s2
	s_add_i32 s3, s0, 1
	s_cmp_ge_u32 s2, s9
	s_cselect_b32 s0, s3, s0
	v_pk_mov_b32 v[2:3], s[0:1], s[0:1] op_sel:[0,1]
.LBB12_6:
	s_waitcnt lgkmcnt(0)
	s_mul_hi_u32 s0, s20, s16
	s_add_i32 s0, s0, s20
	v_mul_hi_u32 v1, v2, s16
	s_lshr_b32 s19, s0, s17
	v_add_u32_e32 v1, v1, v2
	s_mul_i32 s0, s19, s18
	v_lshrrev_b32_e32 v1, s17, v1
	s_cmp_eq_u32 s0, s20
	v_cmp_eq_u32_e64 s[0:1], s19, v1
	v_mul_lo_u32 v1, v1, s18
	v_cmp_eq_u32_e32 vcc, s20, v2
	s_cselect_b64 s[10:11], -1, 0
	v_cmp_ne_u32_e64 s[2:3], v1, v2
	s_and_b64 s[0:1], s[0:1], s[2:3]
	s_or_b64 s[2:3], vcc, s[10:11]
	s_or_b64 s[0:1], s[2:3], s[0:1]
	s_and_b64 vcc, exec, s[0:1]
	s_cbranch_vccnz .LBB12_24
; %bb.7:
	s_load_dwordx8 s[24:31], s[4:5], 0x20
	s_load_dword s0, s[4:5], 0x40
	s_mov_b32 s10, 0
	s_waitcnt lgkmcnt(0)
	s_mul_hi_u32 s1, s20, s24
	s_add_i32 s1, s1, s20
	s_lshr_b32 s11, s1, s25
	s_mul_i32 s1, s11, s26
	s_sub_i32 s1, s20, s1
	s_mul_hi_u32 s2, s1, s27
	s_add_i32 s2, s1, s2
	s_lshr_b32 s25, s2, s28
	s_mul_i32 s2, s25, s29
	s_sub_i32 s1, s1, s2
	s_mul_hi_u32 s2, s1, s30
	s_add_i32 s2, s1, s2
	s_lshr_b32 s24, s2, s31
	s_mul_i32 s0, s24, s0
	s_sub_i32 s0, s1, s0
	s_mul_hi_u32 s1, s0, s16
	s_add_i32 s0, s0, s1
	s_lshr_b32 s26, s0, s17
	s_lshl_b32 s0, s26, 1
	s_add_i32 s0, s0, s7
	s_cmp_lt_i32 s0, s12
	s_cselect_b64 s[0:1], -1, 0
	s_add_i32 s2, s24, s8
	s_cmp_lt_i32 s2, s14
	s_cselect_b64 s[2:3], -1, 0
	s_and_b64 s[0:1], s[0:1], s[2:3]
	s_andn2_b64 vcc, exec, s[0:1]
	s_cbranch_vccnz .LBB12_24
; %bb.8:
	s_load_dwordx4 s[0:3], s[4:5], 0x0
	s_lshl_b32 s4, s9, 3
	s_mov_b32 s5, s10
	s_add_i32 s21, s7, s8
	s_lshl_b64 s[4:5], s[4:5], 2
	s_waitcnt lgkmcnt(0)
	s_add_u32 s22, s2, s4
	s_mul_i32 s4, s11, s12
	s_addc_u32 s23, s3, s5
	s_add_i32 s4, s4, s7
	s_mul_i32 s4, s4, s13
	s_mul_i32 s25, s25, s14
	s_add_i32 s4, s4, s8
	s_add_i32 s4, s4, s25
	s_mul_i32 s5, s13, s26
	s_add_i32 s4, s4, s24
	s_lshl_b32 s5, s5, 7
	s_lshl_b32 s4, s4, 6
	s_add_i32 s5, s5, s4
	v_or_b32_e32 v2, s5, v0
	v_ashrrev_i32_e32 v3, 31, v2
	v_lshlrev_b64 v[2:3], 2, v[2:3]
	v_mov_b32_e32 v1, s1
	v_add_co_u32_e32 v2, vcc, s0, v2
	v_addc_co_u32_e32 v3, vcc, v1, v3, vcc
	global_load_dword v5, v[2:3], off
	v_lshl_or_b32 v4, s21, 6, v0
	v_cvt_f32_u32_e32 v0, s9
	v_cvt_f32_ubyte0_e32 v1, 0
	s_lshl_b32 s0, s6, 1
	s_add_i32 s0, s0, s21
	v_mac_f32_e32 v0, 0x4f800000, v1
	v_rcp_f32_e32 v0, v0
	v_cvt_f32_u32_e32 v1, s9
	s_ashr_i32 s1, s0, 31
	s_lshl_b64 s[0:1], s[0:1], 3
	v_mul_f32_e32 v0, 0x5f7ffffc, v0
	v_rcp_iflag_f32_e32 v1, v1
	s_add_u32 s0, s2, s0
	v_mul_f32_e32 v9, 0x2f800000, v0
	s_addc_u32 s1, s3, s1
	v_trunc_f32_e32 v10, v9
	s_load_dwordx2 s[0:1], s[0:1], 0x0
	v_mac_f32_e32 v0, 0xcf800000, v10
	v_cvt_u32_f32_e32 v9, v0
	v_mul_f32_e32 v0, 0x4f7ffffe, v1
	v_cvt_u32_f32_e32 v10, v10
	v_cvt_u32_f32_e32 v11, v0
	s_add_i32 s8, s6, -1
	s_waitcnt lgkmcnt(0)
	v_mov_b32_e32 v6, s1
	v_mov_b32_e32 v7, s0
	;; [unrolled: 1-line block ×3, first 2 shown]
	s_mov_b32 s6, 0x3fb8aa3b
	s_mov_b32 s7, 0xc2ce8ed0
	;; [unrolled: 1-line block ×4, first 2 shown]
	v_mov_b32_e32 v12, 0x7f800000
	s_mul_hi_i32 s11, s8, s15
	s_cmp_lg_u64 s[10:11], 0
	s_mul_i32 s4, s8, s15
	s_cbranch_scc0 .LBB12_15
.LBB12_9:
	s_sub_u32 s0, 0, s9
	v_readfirstlane_b32 s5, v9
	v_readfirstlane_b32 s24, v10
	s_subb_u32 s1, 0, 0
	s_mul_hi_u32 s20, s0, s5
	s_mul_i32 s25, s0, s24
	s_mul_i32 s14, s1, s5
	s_add_i32 s20, s20, s25
	s_add_i32 s20, s20, s14
	s_mul_i32 s26, s0, s5
	s_mul_hi_u32 s14, s5, s20
	s_mul_i32 s25, s5, s20
	s_mul_hi_u32 s5, s5, s26
	s_add_u32 s5, s5, s25
	s_addc_u32 s14, 0, s14
	s_mul_hi_u32 s27, s24, s26
	s_mul_i32 s26, s24, s26
	s_add_u32 s5, s5, s26
	s_mul_hi_u32 s25, s24, s20
	s_addc_u32 s5, s14, s27
	s_addc_u32 s14, s25, 0
	s_mul_i32 s20, s24, s20
	s_add_u32 s5, s5, s20
	s_addc_u32 s14, 0, s14
	v_add_co_u32_e32 v0, vcc, s5, v9
	s_cmp_lg_u64 vcc, 0
	s_addc_u32 s5, s24, s14
	v_readfirstlane_b32 s20, v0
	s_mul_i32 s14, s0, s5
	s_mul_hi_u32 s24, s0, s20
	s_add_i32 s14, s24, s14
	s_mul_i32 s1, s1, s20
	s_add_i32 s14, s14, s1
	s_mul_i32 s0, s0, s20
	s_mul_hi_u32 s24, s5, s0
	s_mul_i32 s25, s5, s0
	s_mul_i32 s27, s20, s14
	s_mul_hi_u32 s0, s20, s0
	s_mul_hi_u32 s26, s20, s14
	s_add_u32 s0, s0, s27
	s_addc_u32 s20, 0, s26
	s_add_u32 s0, s0, s25
	s_mul_hi_u32 s1, s5, s14
	s_addc_u32 s0, s20, s24
	s_addc_u32 s1, s1, 0
	s_mul_i32 s14, s5, s14
	s_add_u32 s0, s0, s14
	s_addc_u32 s1, 0, s1
	v_add_co_u32_e32 v0, vcc, s0, v0
	s_cmp_lg_u64 vcc, 0
	s_addc_u32 s5, s5, s1
	s_ashr_i32 s0, s11, 31
	s_add_u32 s24, s4, s0
	s_mov_b32 s1, s0
	s_addc_u32 s25, s11, s0
	s_xor_b64 s[24:25], s[24:25], s[0:1]
	v_readfirstlane_b32 s14, v0
	s_mul_i32 s11, s24, s5
	s_mul_hi_u32 s20, s24, s14
	s_mul_hi_u32 s1, s24, s5
	s_add_u32 s11, s20, s11
	s_addc_u32 s1, 0, s1
	s_mul_hi_u32 s26, s25, s14
	s_mul_i32 s14, s25, s14
	s_add_u32 s11, s11, s14
	s_mul_hi_u32 s20, s25, s5
	s_addc_u32 s1, s1, s26
	s_addc_u32 s11, s20, 0
	s_mul_i32 s5, s25, s5
	s_add_u32 s1, s1, s5
	s_addc_u32 s5, 0, s11
	s_mul_i32 s5, s9, s5
	s_mul_hi_u32 s20, s9, s1
	s_add_i32 s20, s20, s5
	s_mul_i32 s5, s9, s1
	v_mov_b32_e32 v0, s5
	s_add_u32 s11, s1, 1
	s_add_u32 s14, s1, 2
	v_sub_co_u32_e32 v0, vcc, s24, v0
	s_cmp_lg_u64 vcc, 0
	s_subb_u32 s5, s25, s20
	v_subrev_co_u32_e32 v1, vcc, s9, v0
	s_cmp_lg_u64 vcc, 0
	s_subb_u32 s20, s5, 0
	v_cmp_le_u32_e32 vcc, s9, v1
	s_cmp_eq_u32 s20, 0
	v_cndmask_b32_e64 v1, 0, -1, vcc
	s_cselect_b64 vcc, -1, 0
	v_cndmask_b32_e32 v1, -1, v1, vcc
	v_mov_b32_e32 v13, s11
	v_mov_b32_e32 v14, s14
	v_cmp_ne_u32_e32 vcc, 0, v1
	v_cndmask_b32_e32 v1, v13, v14, vcc
	v_cmp_le_u32_e32 vcc, s9, v0
	s_cmp_eq_u32 s5, 0
	v_cndmask_b32_e64 v0, 0, -1, vcc
	s_cselect_b64 vcc, -1, 0
	v_cndmask_b32_e32 v0, -1, v0, vcc
	v_mov_b32_e32 v13, s1
	v_cmp_ne_u32_e32 vcc, 0, v0
	v_cndmask_b32_e32 v0, v13, v1, vcc
	v_xor_b32_e32 v0, s0, v0
	v_subrev_co_u32_e32 v0, vcc, s0, v0
	s_cbranch_execnz .LBB12_11
.LBB12_10:
	s_sub_i32 s0, 0, s9
	v_mul_lo_u32 v0, s0, v11
	v_mul_hi_u32 v0, v11, v0
	v_add_u32_e32 v0, v11, v0
	v_mul_hi_u32 v0, s4, v0
	v_mul_lo_u32 v13, v0, s9
	v_sub_u32_e32 v13, s4, v13
	v_add_u32_e32 v1, 1, v0
	v_subrev_u32_e32 v14, s9, v13
	v_cmp_le_u32_e32 vcc, s9, v13
	v_cndmask_b32_e32 v13, v13, v14, vcc
	v_cndmask_b32_e32 v0, v0, v1, vcc
	v_add_u32_e32 v1, 1, v0
	v_cmp_le_u32_e32 vcc, s9, v13
	v_cndmask_b32_e32 v0, v0, v1, vcc
.LBB12_11:
	v_cmp_ne_u32_e32 vcc, v8, v0
	s_cbranch_vccz .LBB12_14
; %bb.12:
	s_add_i32 s0, s8, s9
	s_lshl_b32 s0, s0, 1
	v_mul_hi_u32 v1, v0, s16
	s_add_i32 s0, s0, s21
	s_mov_b32 s1, s10
	v_add_u32_e32 v1, v1, v0
	s_lshl_b64 s[0:1], s[0:1], 3
	v_lshrrev_b32_e32 v1, s17, v1
	s_add_u32 s4, s2, s0
	v_mul_lo_u32 v13, v1, s18
	s_addc_u32 s5, s3, s1
	v_cmp_eq_u32_e32 vcc, v13, v0
	v_cmp_gt_u32_e64 s[0:1], s19, v1
	s_or_b64 s[0:1], s[0:1], vcc
	s_and_b64 vcc, exec, s[0:1]
	s_cbranch_vccnz .LBB12_16
; %bb.13:
	s_add_i32 s11, s8, -1
	s_mov_b64 s[0:1], 0
	s_branch .LBB12_17
.LBB12_14:
                                        ; implicit-def: $sgpr0_sgpr1
                                        ; implicit-def: $vgpr14
                                        ; implicit-def: $vgpr1
                                        ; implicit-def: $vgpr13
                                        ; implicit-def: $sgpr11
                                        ; implicit-def: $vgpr0
	s_branch .LBB12_18
.LBB12_15:
                                        ; implicit-def: $vgpr0_vgpr1
	s_branch .LBB12_10
.LBB12_16:
	s_mov_b64 s[0:1], -1
	s_mov_b32 s11, s8
	v_mov_b32_e32 v0, v8
.LBB12_17:
	v_lshl_add_u32 v14, s8, 7, v4
	v_ashrrev_i32_e32 v15, 31, v14
	v_lshlrev_b64 v[14:15], 2, v[14:15]
	v_mov_b32_e32 v1, s23
	v_add_co_u32_e32 v14, vcc, s22, v14
	v_addc_co_u32_e32 v15, vcc, v1, v15, vcc
	global_load_dword v14, v[14:15], off
	s_load_dwordx2 s[4:5], s[4:5], 0x0
	v_max_f32_e32 v1, v7, v7
	s_waitcnt lgkmcnt(0)
	v_max_f32_e64 v13, s4, s4
	v_max_f32_e32 v1, v1, v13
	v_sub_f32_e32 v13, v7, v1
	v_sub_f32_e32 v15, s4, v1
	v_mul_f32_e32 v16, 0x3fb8aa3b, v13
	v_mul_f32_e32 v17, 0x3fb8aa3b, v15
	v_fma_f32 v18, v13, s6, -v16
	v_rndne_f32_e32 v19, v16
	v_fma_f32 v20, v15, s6, -v17
	v_rndne_f32_e32 v21, v17
	v_fmac_f32_e32 v18, 0x32a5705f, v13
	v_sub_f32_e32 v16, v16, v19
	v_fmac_f32_e32 v20, 0x32a5705f, v15
	v_sub_f32_e32 v17, v17, v21
	v_add_f32_e32 v16, v16, v18
	v_cvt_i32_f32_e32 v19, v19
	v_add_f32_e32 v17, v17, v20
	v_exp_f32_e32 v16, v16
	v_cvt_i32_f32_e32 v21, v21
	v_exp_f32_e32 v17, v17
	v_cmp_ngt_f32_e32 vcc, s7, v13
	v_ldexp_f32 v16, v16, v19
	v_cndmask_b32_e32 v16, 0, v16, vcc
	v_ldexp_f32 v17, v17, v21
	v_cmp_ngt_f32_e32 vcc, s7, v15
	v_cndmask_b32_e32 v17, 0, v17, vcc
	v_cmp_nlt_f32_e32 vcc, s12, v13
	v_cndmask_b32_e32 v16, v12, v16, vcc
	v_cmp_nlt_f32_e32 vcc, s12, v15
	v_cndmask_b32_e32 v17, v12, v17, vcc
	v_cmp_le_f32_e32 vcc, s13, v13
	v_cndmask_b32_e32 v16, 0, v16, vcc
	v_cmp_le_f32_e32 vcc, s13, v15
	v_cndmask_b32_e32 v15, 0, v17, vcc
	v_mul_f32_e32 v13, s5, v15
	v_fmac_f32_e32 v13, v6, v16
	s_waitcnt vmcnt(0)
	v_mul_f32_e32 v14, v14, v15
	v_fmac_f32_e32 v14, v5, v16
	s_cbranch_execnz .LBB12_19
.LBB12_18:
	s_add_i32 s11, s8, -1
	s_mov_b64 s[0:1], 0
	v_mov_b32_e32 v0, v8
	v_mov_b32_e32 v13, v6
	;; [unrolled: 1-line block ×3, first 2 shown]
	s_waitcnt vmcnt(0)
	v_mov_b32_e32 v14, v5
.LBB12_19:
	s_andn2_b64 vcc, exec, s[0:1]
	s_cbranch_vccz .LBB12_23
; %bb.20:
	v_mov_b32_e32 v8, v0
	s_mov_b32 s8, s11
	v_mov_b32_e32 v6, v13
	v_mov_b32_e32 v7, v1
	s_waitcnt vmcnt(0)
	v_mov_b32_e32 v5, v14
	s_mul_hi_i32 s11, s8, s15
	s_cmp_lg_u64 s[10:11], 0
	s_mul_i32 s4, s8, s15
	s_cbranch_scc1 .LBB12_9
	s_branch .LBB12_15
.LBB12_21:
                                        ; implicit-def: $sgpr20_sgpr21
	s_load_dwordx4 s[16:19], s[4:5], 0x44
	s_branch .LBB12_2
.LBB12_22:
                                        ; implicit-def: $vgpr2_vgpr3
	s_branch .LBB12_5
.LBB12_23:
	v_div_scale_f32 v0, s[0:1], v13, v13, v14
	v_rcp_f32_e32 v1, v0
	v_div_scale_f32 v4, vcc, v14, v13, v14
	s_waitcnt vmcnt(0)
	v_fma_f32 v5, -v0, v1, 1.0
	v_fmac_f32_e32 v1, v5, v1
	v_mul_f32_e32 v5, v4, v1
	v_fma_f32 v6, -v0, v5, v4
	v_fmac_f32_e32 v5, v6, v1
	v_fma_f32 v0, -v0, v5, v4
	v_div_fmas_f32 v0, v0, v1, v5
	v_div_fixup_f32 v0, v0, v13, v14
	global_store_dword v[2:3], v0, off
.LBB12_24:
	s_endpgm
	.section	.rodata,"a",@progbits
	.p2align	6, 0x0
	.amdhsa_kernel _ZL33flash_attn_stream_k_fixup_generalILi64ELi2ELi1EEvPfPK15HIP_vector_typeIfLj2EEiiiiS1_IjLj3EES5_S5_S5_
		.amdhsa_group_segment_fixed_size 0
		.amdhsa_private_segment_fixed_size 0
		.amdhsa_kernarg_size 336
		.amdhsa_user_sgpr_count 6
		.amdhsa_user_sgpr_private_segment_buffer 1
		.amdhsa_user_sgpr_dispatch_ptr 0
		.amdhsa_user_sgpr_queue_ptr 0
		.amdhsa_user_sgpr_kernarg_segment_ptr 1
		.amdhsa_user_sgpr_dispatch_id 0
		.amdhsa_user_sgpr_flat_scratch_init 0
		.amdhsa_user_sgpr_kernarg_preload_length 0
		.amdhsa_user_sgpr_kernarg_preload_offset 0
		.amdhsa_user_sgpr_private_segment_size 0
		.amdhsa_uses_dynamic_stack 0
		.amdhsa_system_sgpr_private_segment_wavefront_offset 0
		.amdhsa_system_sgpr_workgroup_id_x 1
		.amdhsa_system_sgpr_workgroup_id_y 1
		.amdhsa_system_sgpr_workgroup_id_z 1
		.amdhsa_system_sgpr_workgroup_info 0
		.amdhsa_system_vgpr_workitem_id 0
		.amdhsa_next_free_vgpr 22
		.amdhsa_next_free_sgpr 32
		.amdhsa_accum_offset 24
		.amdhsa_reserve_vcc 1
		.amdhsa_reserve_flat_scratch 0
		.amdhsa_float_round_mode_32 0
		.amdhsa_float_round_mode_16_64 0
		.amdhsa_float_denorm_mode_32 3
		.amdhsa_float_denorm_mode_16_64 3
		.amdhsa_dx10_clamp 1
		.amdhsa_ieee_mode 1
		.amdhsa_fp16_overflow 0
		.amdhsa_tg_split 0
		.amdhsa_exception_fp_ieee_invalid_op 0
		.amdhsa_exception_fp_denorm_src 0
		.amdhsa_exception_fp_ieee_div_zero 0
		.amdhsa_exception_fp_ieee_overflow 0
		.amdhsa_exception_fp_ieee_underflow 0
		.amdhsa_exception_fp_ieee_inexact 0
		.amdhsa_exception_int_div_zero 0
	.end_amdhsa_kernel
	.section	.text._ZL33flash_attn_stream_k_fixup_generalILi64ELi2ELi1EEvPfPK15HIP_vector_typeIfLj2EEiiiiS1_IjLj3EES5_S5_S5_,"axG",@progbits,_ZL33flash_attn_stream_k_fixup_generalILi64ELi2ELi1EEvPfPK15HIP_vector_typeIfLj2EEiiiiS1_IjLj3EES5_S5_S5_,comdat
.Lfunc_end12:
	.size	_ZL33flash_attn_stream_k_fixup_generalILi64ELi2ELi1EEvPfPK15HIP_vector_typeIfLj2EEiiiiS1_IjLj3EES5_S5_S5_, .Lfunc_end12-_ZL33flash_attn_stream_k_fixup_generalILi64ELi2ELi1EEvPfPK15HIP_vector_typeIfLj2EEiiiiS1_IjLj3EES5_S5_S5_
                                        ; -- End function
	.section	.AMDGPU.csdata,"",@progbits
; Kernel info:
; codeLenInByte = 2816
; NumSgprs: 36
; NumVgprs: 22
; NumAgprs: 0
; TotalNumVgprs: 22
; ScratchSize: 0
; MemoryBound: 0
; FloatMode: 240
; IeeeMode: 1
; LDSByteSize: 0 bytes/workgroup (compile time only)
; SGPRBlocks: 4
; VGPRBlocks: 2
; NumSGPRsForWavesPerEU: 36
; NumVGPRsForWavesPerEU: 22
; AccumOffset: 24
; Occupancy: 8
; WaveLimiterHint : 0
; COMPUTE_PGM_RSRC2:SCRATCH_EN: 0
; COMPUTE_PGM_RSRC2:USER_SGPR: 6
; COMPUTE_PGM_RSRC2:TRAP_HANDLER: 0
; COMPUTE_PGM_RSRC2:TGID_X_EN: 1
; COMPUTE_PGM_RSRC2:TGID_Y_EN: 1
; COMPUTE_PGM_RSRC2:TGID_Z_EN: 1
; COMPUTE_PGM_RSRC2:TIDIG_COMP_CNT: 0
; COMPUTE_PGM_RSRC3_GFX90A:ACCUM_OFFSET: 5
; COMPUTE_PGM_RSRC3_GFX90A:TG_SPLIT: 0
	.section	.text._ZL18flash_attn_ext_vecILi64ELi2EL9ggml_type6ELS0_8ELb1EEvPKcS2_S2_S2_S2_PKiPfP15HIP_vector_typeIfLj2EEffffjfiS6_IjLj3EEiiiiiiiiiiiliiliiiiil,"axG",@progbits,_ZL18flash_attn_ext_vecILi64ELi2EL9ggml_type6ELS0_8ELb1EEvPKcS2_S2_S2_S2_PKiPfP15HIP_vector_typeIfLj2EEffffjfiS6_IjLj3EEiiiiiiiiiiiliiliiiiil,comdat
	.globl	_ZL18flash_attn_ext_vecILi64ELi2EL9ggml_type6ELS0_8ELb1EEvPKcS2_S2_S2_S2_PKiPfP15HIP_vector_typeIfLj2EEffffjfiS6_IjLj3EEiiiiiiiiiiiliiliiiiil ; -- Begin function _ZL18flash_attn_ext_vecILi64ELi2EL9ggml_type6ELS0_8ELb1EEvPKcS2_S2_S2_S2_PKiPfP15HIP_vector_typeIfLj2EEffffjfiS6_IjLj3EEiiiiiiiiiiiliiliiiiil
	.p2align	8
	.type	_ZL18flash_attn_ext_vecILi64ELi2EL9ggml_type6ELS0_8ELb1EEvPKcS2_S2_S2_S2_PKiPfP15HIP_vector_typeIfLj2EEffffjfiS6_IjLj3EEiiiiiiiiiiiliiliiiiil,@function
_ZL18flash_attn_ext_vecILi64ELi2EL9ggml_type6ELS0_8ELb1EEvPKcS2_S2_S2_S2_PKiPfP15HIP_vector_typeIfLj2EEffffjfiS6_IjLj3EEiiiiiiiiiiiliiliiiiil: ; @_ZL18flash_attn_ext_vecILi64ELi2EL9ggml_type6ELS0_8ELb1EEvPKcS2_S2_S2_S2_PKiPfP15HIP_vector_typeIfLj2EEffffjfiS6_IjLj3EEiiiiiiiiiiiliiliiiiil
; %bb.0:
	s_add_u32 flat_scratch_lo, s6, s9
	s_addc_u32 flat_scratch_hi, s7, 0
	s_add_u32 s0, s0, s9
	s_addc_u32 s1, s1, 0
	s_add_u32 s8, s4, 0xd0
	s_addc_u32 s9, s5, 0
	s_mov_b32 s32, 0
	s_getpc_b64 s[4:5]
	s_add_u32 s4, s4, _ZL14no_device_codePKciS0_iS0_@rel32@lo+4
	s_addc_u32 s5, s5, _ZL14no_device_codePKciS0_iS0_@rel32@hi+12
	s_swappc_b64 s[30:31], s[4:5]
	.section	.rodata,"a",@progbits
	.p2align	6, 0x0
	.amdhsa_kernel _ZL18flash_attn_ext_vecILi64ELi2EL9ggml_type6ELS0_8ELb1EEvPKcS2_S2_S2_S2_PKiPfP15HIP_vector_typeIfLj2EEffffjfiS6_IjLj3EEiiiiiiiiiiiliiliiiiil
		.amdhsa_group_segment_fixed_size 0
		.amdhsa_private_segment_fixed_size 16
		.amdhsa_kernarg_size 464
		.amdhsa_user_sgpr_count 8
		.amdhsa_user_sgpr_private_segment_buffer 1
		.amdhsa_user_sgpr_dispatch_ptr 0
		.amdhsa_user_sgpr_queue_ptr 0
		.amdhsa_user_sgpr_kernarg_segment_ptr 1
		.amdhsa_user_sgpr_dispatch_id 0
		.amdhsa_user_sgpr_flat_scratch_init 1
		.amdhsa_user_sgpr_kernarg_preload_length 0
		.amdhsa_user_sgpr_kernarg_preload_offset 0
		.amdhsa_user_sgpr_private_segment_size 0
		.amdhsa_uses_dynamic_stack 0
		.amdhsa_system_sgpr_private_segment_wavefront_offset 1
		.amdhsa_system_sgpr_workgroup_id_x 1
		.amdhsa_system_sgpr_workgroup_id_y 0
		.amdhsa_system_sgpr_workgroup_id_z 0
		.amdhsa_system_sgpr_workgroup_info 0
		.amdhsa_system_vgpr_workitem_id 0
		.amdhsa_next_free_vgpr 39
		.amdhsa_next_free_sgpr 34
		.amdhsa_accum_offset 40
		.amdhsa_reserve_vcc 1
		.amdhsa_reserve_flat_scratch 1
		.amdhsa_float_round_mode_32 0
		.amdhsa_float_round_mode_16_64 0
		.amdhsa_float_denorm_mode_32 3
		.amdhsa_float_denorm_mode_16_64 3
		.amdhsa_dx10_clamp 1
		.amdhsa_ieee_mode 1
		.amdhsa_fp16_overflow 0
		.amdhsa_tg_split 0
		.amdhsa_exception_fp_ieee_invalid_op 0
		.amdhsa_exception_fp_denorm_src 0
		.amdhsa_exception_fp_ieee_div_zero 0
		.amdhsa_exception_fp_ieee_overflow 0
		.amdhsa_exception_fp_ieee_underflow 0
		.amdhsa_exception_fp_ieee_inexact 0
		.amdhsa_exception_int_div_zero 0
	.end_amdhsa_kernel
	.section	.text._ZL18flash_attn_ext_vecILi64ELi2EL9ggml_type6ELS0_8ELb1EEvPKcS2_S2_S2_S2_PKiPfP15HIP_vector_typeIfLj2EEffffjfiS6_IjLj3EEiiiiiiiiiiiliiliiiiil,"axG",@progbits,_ZL18flash_attn_ext_vecILi64ELi2EL9ggml_type6ELS0_8ELb1EEvPKcS2_S2_S2_S2_PKiPfP15HIP_vector_typeIfLj2EEffffjfiS6_IjLj3EEiiiiiiiiiiiliiliiiiil,comdat
.Lfunc_end13:
	.size	_ZL18flash_attn_ext_vecILi64ELi2EL9ggml_type6ELS0_8ELb1EEvPKcS2_S2_S2_S2_PKiPfP15HIP_vector_typeIfLj2EEffffjfiS6_IjLj3EEiiiiiiiiiiiliiliiiiil, .Lfunc_end13-_ZL18flash_attn_ext_vecILi64ELi2EL9ggml_type6ELS0_8ELb1EEvPKcS2_S2_S2_S2_PKiPfP15HIP_vector_typeIfLj2EEffffjfiS6_IjLj3EEiiiiiiiiiiiliiliiiiil
                                        ; -- End function
	.section	.AMDGPU.csdata,"",@progbits
; Kernel info:
; codeLenInByte = 56
; NumSgprs: 40
; NumVgprs: 39
; NumAgprs: 0
; TotalNumVgprs: 39
; ScratchSize: 16
; MemoryBound: 0
; FloatMode: 240
; IeeeMode: 1
; LDSByteSize: 0 bytes/workgroup (compile time only)
; SGPRBlocks: 4
; VGPRBlocks: 4
; NumSGPRsForWavesPerEU: 40
; NumVGPRsForWavesPerEU: 39
; AccumOffset: 40
; Occupancy: 8
; WaveLimiterHint : 1
; COMPUTE_PGM_RSRC2:SCRATCH_EN: 1
; COMPUTE_PGM_RSRC2:USER_SGPR: 8
; COMPUTE_PGM_RSRC2:TRAP_HANDLER: 0
; COMPUTE_PGM_RSRC2:TGID_X_EN: 1
; COMPUTE_PGM_RSRC2:TGID_Y_EN: 0
; COMPUTE_PGM_RSRC2:TGID_Z_EN: 0
; COMPUTE_PGM_RSRC2:TIDIG_COMP_CNT: 0
; COMPUTE_PGM_RSRC3_GFX90A:ACCUM_OFFSET: 9
; COMPUTE_PGM_RSRC3_GFX90A:TG_SPLIT: 0
	.section	.text._ZL18flash_attn_ext_vecILi128ELi1EL9ggml_type6ELS0_8ELb0EEvPKcS2_S2_S2_S2_PKiPfP15HIP_vector_typeIfLj2EEffffjfiS6_IjLj3EEiiiiiiiiiiiliiliiiiil,"axG",@progbits,_ZL18flash_attn_ext_vecILi128ELi1EL9ggml_type6ELS0_8ELb0EEvPKcS2_S2_S2_S2_PKiPfP15HIP_vector_typeIfLj2EEffffjfiS6_IjLj3EEiiiiiiiiiiiliiliiiiil,comdat
	.globl	_ZL18flash_attn_ext_vecILi128ELi1EL9ggml_type6ELS0_8ELb0EEvPKcS2_S2_S2_S2_PKiPfP15HIP_vector_typeIfLj2EEffffjfiS6_IjLj3EEiiiiiiiiiiiliiliiiiil ; -- Begin function _ZL18flash_attn_ext_vecILi128ELi1EL9ggml_type6ELS0_8ELb0EEvPKcS2_S2_S2_S2_PKiPfP15HIP_vector_typeIfLj2EEffffjfiS6_IjLj3EEiiiiiiiiiiiliiliiiiil
	.p2align	8
	.type	_ZL18flash_attn_ext_vecILi128ELi1EL9ggml_type6ELS0_8ELb0EEvPKcS2_S2_S2_S2_PKiPfP15HIP_vector_typeIfLj2EEffffjfiS6_IjLj3EEiiiiiiiiiiiliiliiiiil,@function
_ZL18flash_attn_ext_vecILi128ELi1EL9ggml_type6ELS0_8ELb0EEvPKcS2_S2_S2_S2_PKiPfP15HIP_vector_typeIfLj2EEffffjfiS6_IjLj3EEiiiiiiiiiiiliiliiiiil: ; @_ZL18flash_attn_ext_vecILi128ELi1EL9ggml_type6ELS0_8ELb0EEvPKcS2_S2_S2_S2_PKiPfP15HIP_vector_typeIfLj2EEffffjfiS6_IjLj3EEiiiiiiiiiiiliiliiiiil
; %bb.0:
	s_load_dwordx2 s[34:35], s[4:5], 0x64
	s_load_dwordx2 s[42:43], s[4:5], 0x80
	;; [unrolled: 1-line block ×3, first 2 shown]
	v_mov_b32_e32 v172, 1.0
	s_waitcnt lgkmcnt(0)
	v_cvt_f32_u32_e32 v1, s35
	s_sub_i32 s0, 0, s35
	v_rcp_iflag_f32_e32 v1, v1
	v_mul_f32_e32 v1, 0x4f7ffffe, v1
	v_cvt_u32_f32_e32 v1, v1
	v_readfirstlane_b32 s1, v1
	s_mul_i32 s0, s0, s1
	s_mul_hi_u32 s0, s1, s0
	s_add_i32 s1, s1, s0
	s_mul_hi_u32 s0, s8, s1
	s_mul_i32 s1, s0, s35
	s_sub_i32 s1, s8, s1
	s_add_i32 s2, s0, 1
	s_sub_i32 s3, s1, s35
	s_cmp_ge_u32 s1, s35
	s_cselect_b32 s0, s2, s0
	s_cselect_b32 s1, s3, s1
	s_add_i32 s2, s0, 1
	s_cmp_ge_u32 s1, s35
	s_cselect_b32 s33, s2, s0
	s_abs_i32 s1, s43
	v_cvt_f32_u32_e32 v1, s1
	s_mul_i32 s9, s33, s35
	s_sub_i32 s16, 0, s1
	s_sub_i32 s40, s8, s9
	v_rcp_iflag_f32_e32 v1, v1
	s_abs_i32 s3, s35
	s_xor_b32 s2, s35, s43
	s_ashr_i32 s2, s2, 31
	v_mul_f32_e32 v1, 0x4f7ffffe, v1
	v_cvt_u32_f32_e32 v1, v1
	s_load_dwordx4 s[12:15], s[4:5], 0x40
	s_load_dword s0, s[4:5], 0x50
	v_readfirstlane_b32 s8, v1
	s_mul_i32 s16, s16, s8
	s_mul_hi_u32 s9, s8, s16
	s_add_i32 s8, s8, s9
	s_mul_hi_u32 s8, s3, s8
	s_mul_i32 s9, s8, s1
	s_sub_i32 s3, s3, s9
	s_add_i32 s16, s8, 1
	s_sub_i32 s9, s3, s1
	s_cmp_ge_u32 s3, s1
	s_cselect_b32 s8, s16, s8
	s_cselect_b32 s3, s9, s3
	s_add_i32 s9, s8, 1
	s_cmp_ge_u32 s3, s1
	s_cselect_b32 s1, s9, s8
	s_xor_b32 s1, s1, s2
	s_sub_i32 s36, s1, s2
	s_abs_i32 s45, s36
	s_abs_i32 s10, s10
	v_cvt_f32_u32_e32 v2, s45
	v_cvt_f32_u32_e32 v1, s10
	s_sub_i32 s2, 0, s45
	s_sub_i32 s1, 0, s10
	v_rcp_iflag_f32_e32 v2, v2
	v_rcp_iflag_f32_e32 v1, v1
	s_abs_i32 s46, s40
	s_abs_i32 s44, s33
	v_mul_f32_e32 v2, 0x4f7ffffe, v2
	v_mul_f32_e32 v1, 0x4f7ffffe, v1
	v_cvt_u32_f32_e32 v2, v2
	v_cvt_u32_f32_e32 v1, v1
	v_readfirstlane_b32 s16, v2
	v_readfirstlane_b32 s17, v1
	s_mul_i32 s2, s2, s16
	s_mul_i32 s1, s1, s17
	s_mul_hi_u32 s2, s16, s2
	s_add_i32 s16, s16, s2
	s_mul_hi_u32 s1, s17, s1
	s_waitcnt lgkmcnt(0)
	v_cmp_le_f32_e64 s[2:3], s13, 0
	s_add_i32 s17, s17, s1
	s_and_b64 vcc, exec, s[2:3]
	s_cbranch_vccnz .LBB14_2
; %bb.1:
	s_sub_i32 s1, s40, s0
	s_lshl_b32 s1, s1, 1
	s_add_i32 s2, s40, 1
	s_or_b32 s3, s1, 1
	s_cmp_lt_u32 s40, s0
	s_cselect_b64 vcc, -1, 0
	s_and_b64 s[0:1], vcc, exec
	v_mov_b32_e32 v1, s15
	v_mov_b32_e32 v2, s14
	s_cselect_b32 s0, s2, s3
	v_cndmask_b32_e32 v18, v1, v2, vcc
	v_cvt_f32_i32_e32 v1, s0
	v_cmp_neq_f32_e32 vcc, 1.0, v18
	s_mov_b32 s0, 0x3f2aaaab
	s_movk_i32 s2, 0x204
	v_cndmask_b32_e32 v19, 1.0, v1, vcc
	v_cmp_eq_f32_e32 vcc, 0, v19
	v_cndmask_b32_e64 v20, |v18|, 1.0, vcc
	v_frexp_mant_f32_e32 v1, v20
	v_cmp_gt_f32_e64 s[0:1], s0, v1
	v_cndmask_b32_e64 v2, 1.0, 2.0, s[0:1]
	v_mul_f32_e32 v1, v1, v2
	v_add_f32_e32 v2, 1.0, v1
	v_rcp_f32_e32 v10, v2
	v_add_f32_e32 v3, -1.0, v2
	v_sub_f32_e32 v5, v1, v3
	v_add_f32_e32 v3, -1.0, v1
	v_mul_f32_e32 v1, v3, v10
	v_mul_f32_e32 v4, v2, v1
	v_fma_f32 v6, v1, v2, -v4
	v_fmac_f32_e32 v6, v1, v5
	v_add_f32_e32 v2, v4, v6
	v_sub_f32_e32 v5, v3, v2
	v_pk_add_f32 v[8:9], v[2:3], v[4:5] neg_lo:[0,1] neg_hi:[0,1]
	v_mov_b32_e32 v7, v2
	v_pk_add_f32 v[2:3], v[8:9], v[6:7] neg_lo:[0,1] neg_hi:[0,1]
	v_add_f32_e32 v2, v2, v3
	v_add_f32_e32 v2, v5, v2
	v_mul_f32_e32 v3, v10, v2
	v_add_f32_e32 v2, v1, v3
	v_sub_f32_e32 v1, v2, v1
	v_sub_f32_e32 v1, v3, v1
	v_mul_f32_e32 v3, v2, v2
	v_fma_f32 v5, v2, v2, -v3
	v_add_f32_e32 v4, v1, v1
	v_fmac_f32_e32 v5, v2, v4
	v_add_f32_e32 v4, v3, v5
	v_mov_b32_e32 v6, 0x3e91f4c4
	v_fmac_f32_e32 v6, 0x3e76c4e1, v4
	v_mov_b32_e32 v7, 0x3ecccdef
	v_fmac_f32_e32 v7, v4, v6
	v_sub_f32_e32 v3, v4, v3
	v_sub_f32_e32 v12, v5, v3
	v_mul_f32_e32 v3, v4, v7
	v_fma_f32 v5, v4, v7, -v3
	v_fmac_f32_e32 v5, v12, v7
	v_add_f32_e32 v6, v3, v5
	v_add_f32_e32 v7, 0x3f2aaaaa, v6
	v_sub_f32_e32 v3, v6, v3
	v_sub_f32_e32 v3, v5, v3
	v_add_f32_e32 v5, 0xbf2aaaaa, v7
	v_add_f32_e32 v3, 0x31739010, v3
	v_sub_f32_e32 v5, v6, v5
	v_pk_mul_f32 v[8:9], v[2:3], v[4:5]
	v_fma_f32 v6, v4, v2, -v8
	v_pk_add_f32 v[10:11], v[2:3], v[4:5]
	v_fmac_f32_e32 v6, v4, v1
	v_mov_b32_e32 v9, v11
	v_fmac_f32_e32 v6, v12, v2
	v_pk_add_f32 v[4:5], v[8:9], v[6:7]
	v_sub_f32_e32 v3, v4, v8
	v_sub_f32_e32 v3, v6, v3
	;; [unrolled: 1-line block ×3, first 2 shown]
	v_add_f32_e32 v9, v11, v6
	v_mov_b32_e32 v6, v5
	v_pk_mul_f32 v[6:7], v[4:5], v[6:7]
	v_cvt_f64_f32_e32 v[10:11], v20
	v_frexp_exp_i32_f64_e32 v7, v[10:11]
	v_subbrev_co_u32_e64 v7, s[0:1], 0, v7, s[0:1]
	v_cvt_f32_i32_e32 v7, v7
	v_fma_f32 v8, v4, v5, -v6
	v_fmac_f32_e32 v8, v4, v9
	s_mov_b32 s0, 0x3f317218
	v_mul_f32_e32 v4, 0x3f317218, v7
	v_fmac_f32_e32 v8, v3, v5
	v_fma_f32 v10, v7, s0, -v4
	v_fmac_f32_e32 v10, 0xb102e308, v7
	v_ldexp_f32 v11, v2, 1
	v_add_f32_e32 v5, v6, v8
	v_pk_add_f32 v[2:3], v[4:5], v[10:11]
	v_mov_b32_e32 v12, v5
	v_mov_b32_e32 v13, v3
	;; [unrolled: 1-line block ×3, first 2 shown]
	v_pk_add_f32 v[6:7], v[12:13], v[6:7] neg_lo:[0,1] neg_hi:[0,1]
	v_mov_b32_e32 v9, v5
	v_ldexp_f32 v1, v1, 1
	v_pk_add_f32 v[6:7], v[8:9], v[6:7] neg_lo:[0,1] neg_hi:[0,1]
	v_add_f32_e32 v1, v1, v6
	v_add_f32_e32 v5, v1, v7
	v_pk_add_f32 v[6:7], v[2:3], v[4:5] neg_lo:[0,1] neg_hi:[0,1]
	v_pk_add_f32 v[8:9], v[2:3], v[4:5]
	v_mov_b32_e32 v12, v6
	v_mov_b32_e32 v13, v9
	;; [unrolled: 1-line block ×3, first 2 shown]
	v_pk_add_f32 v[12:13], v[10:11], v[12:13]
	v_mov_b32_e32 v4, v13
	v_pk_add_f32 v[14:15], v[4:5], v[2:3] neg_lo:[0,1] neg_hi:[0,1]
	v_mov_b32_e32 v1, v14
	v_mov_b32_e32 v12, v9
	;; [unrolled: 1-line block ×4, first 2 shown]
	v_pk_add_f32 v[6:7], v[10:11], v[6:7] neg_lo:[0,1] neg_hi:[0,1]
	v_pk_add_f32 v[16:17], v[8:9], v[0:1] neg_lo:[0,1] neg_hi:[0,1]
	;; [unrolled: 1-line block ×3, first 2 shown]
	v_mov_b32_e32 v10, v5
	v_pk_add_f32 v[2:3], v[10:11], v[2:3] neg_lo:[0,1] neg_hi:[0,1]
	v_mov_b32_e32 v16, v6
	v_pk_add_f32 v[8:9], v[16:17], v[2:3]
	v_mov_b32_e32 v10, v9
	v_pk_add_f32 v[10:11], v[8:9], v[10:11]
	v_pk_add_f32 v[4:5], v[4:5], v[10:11]
	v_mov_b32_e32 v7, v13
	v_mov_b32_e32 v9, v4
	v_pk_add_f32 v[12:13], v[8:9], v[6:7] neg_lo:[0,1] neg_hi:[0,1]
	v_mov_b32_e32 v3, v10
	v_sub_f32_e32 v1, v8, v12
	v_pk_add_f32 v[2:3], v[2:3], v[12:13] neg_lo:[0,1] neg_hi:[0,1]
	v_sub_f32_e32 v1, v6, v1
	v_add_f32_e32 v1, v2, v1
	v_add_f32_e32 v1, v1, v3
	;; [unrolled: 1-line block ×3, first 2 shown]
	v_sub_f32_e32 v3, v2, v4
	v_sub_f32_e32 v1, v1, v3
	v_mul_f32_e32 v3, v19, v2
	v_fma_f32 v2, v19, v2, -v3
	v_fmac_f32_e32 v2, v19, v1
	v_add_f32_e32 v1, v3, v2
	v_cmp_class_f32_e64 s[0:1], v3, s2
	v_sub_f32_e32 v4, v1, v3
	v_cndmask_b32_e64 v1, v1, v3, s[0:1]
	s_mov_b32 s8, 0x42b17218
	v_mov_b32_e32 v3, 0x37000000
	v_cmp_eq_f32_e64 s[0:1], s8, v1
	v_cndmask_b32_e64 v3, 0, v3, s[0:1]
	v_sub_f32_e32 v2, v2, v4
	v_sub_f32_e32 v4, v1, v3
	s_mov_b32 s0, 0x3fb8aa3b
	v_mul_f32_e32 v5, 0x3fb8aa3b, v4
	v_fma_f32 v6, v4, s0, -v5
	v_rndne_f32_e32 v7, v5
	v_fmac_f32_e32 v6, 0x32a5705f, v4
	v_sub_f32_e32 v5, v5, v7
	v_add_f32_e32 v5, v5, v6
	v_exp_f32_e32 v5, v5
	v_cvt_i32_f32_e32 v6, v7
	s_mov_b32 s3, 0x7f800000
	v_cmp_neq_f32_e64 s[0:1], |v1|, s3
	v_cndmask_b32_e64 v1, 0, v2, s[0:1]
	s_mov_b32 s0, 0xc2ce8ed0
	v_ldexp_f32 v2, v5, v6
	v_cmp_ngt_f32_e64 s[0:1], s0, v4
	v_add_f32_e32 v1, v3, v1
	v_cndmask_b32_e64 v2, 0, v2, s[0:1]
	v_mov_b32_e32 v3, 0x7f800000
	v_cmp_nlt_f32_e64 s[0:1], s8, v4
	v_cndmask_b32_e64 v2, v3, v2, s[0:1]
	v_fma_f32 v1, v2, v1, v2
	v_cmp_class_f32_e64 s[0:1], v2, s2
	v_trunc_f32_e32 v4, v19
	v_cndmask_b32_e64 v1, v1, v2, s[0:1]
	v_cndmask_b32_e64 v2, v18, 1.0, vcc
	v_cmp_eq_f32_e32 vcc, v4, v19
	v_mul_f32_e32 v4, 0.5, v19
	v_trunc_f32_e32 v6, v4
	v_cmp_neq_f32_e64 s[0:1], v6, v4
	s_and_b64 s[0:1], vcc, s[0:1]
	v_cndmask_b32_e64 v4, 1.0, v2, s[0:1]
	s_brev_b32 s14, -2
	v_mov_b32_e32 v5, 0x7fc00000
	v_bfi_b32 v1, s14, v1, v4
	v_cndmask_b32_e32 v4, v5, v1, vcc
	v_cmp_gt_f32_e32 vcc, 0, v2
	v_cndmask_b32_e32 v1, v1, v4, vcc
	v_cmp_eq_f32_e32 vcc, s3, v20
	v_cmp_eq_f32_e64 s[2:3], 0, v2
	v_cmp_gt_f32_e64 s[8:9], 0, v19
	s_xor_b64 s[8:9], s[8:9], s[2:3]
	v_cndmask_b32_e64 v3, v3, 0, s[8:9]
	v_cndmask_b32_e64 v4, 0, v2, s[0:1]
	v_bfi_b32 v3, s14, v3, v4
	s_or_b64 vcc, vcc, s[2:3]
	v_cndmask_b32_e32 v1, v1, v3, vcc
	v_cmp_o_f32_e32 vcc, v2, v2
	v_cndmask_b32_e32 v172, v5, v1, vcc
.LBB14_2:
	s_mul_hi_u32 s15, s46, s16
	s_mul_hi_u32 s14, s44, s17
	s_load_dwordx16 s[16:31], s[4:5], 0x0
	v_bfe_u32 v168, v0, 10, 10
	v_and_b32_e32 v169, 0x3ff, v0
	v_cmp_eq_u32_e64 s[0:1], 0, v168
	v_mbcnt_lo_u32_b32 v170, -1, 0
	s_and_saveexec_b64 s[2:3], s[0:1]
	s_cbranch_execz .LBB14_7
; %bb.3:
	s_load_dwordx4 s[48:51], s[4:5], 0x70
	v_lshlrev_b32_e32 v0, 4, v169
	v_mbcnt_hi_u32_b32 v4, -1, v170
	v_and_b32_e32 v5, 0x60, v4
	v_xor_b32_e32 v6, 4, v4
	s_waitcnt lgkmcnt(0)
	s_mul_i32 s8, s33, s50
	s_mul_i32 s37, s6, s48
	;; [unrolled: 1-line block ×3, first 2 shown]
	s_add_i32 s8, s8, s37
	s_add_i32 s8, s8, s9
	s_ashr_i32 s9, s8, 31
	s_add_u32 s8, s16, s8
	s_addc_u32 s9, s17, s9
	global_load_dwordx4 v[0:3], v0, s[8:9]
	v_add_u32_e32 v9, 32, v5
	v_xor_b32_e32 v7, 2, v4
	v_cmp_lt_i32_e32 vcc, v6, v9
	v_cndmask_b32_e32 v5, v4, v6, vcc
	v_cmp_lt_i32_e32 vcc, v7, v9
	v_cndmask_b32_e32 v6, v4, v7, vcc
	v_lshlrev_b32_e32 v10, 2, v6
	v_lshlrev_b32_e32 v7, 2, v5
	v_xor_b32_e32 v8, 1, v4
	v_cmp_lt_i32_e32 vcc, v8, v9
	v_cndmask_b32_e32 v4, v4, v8, vcc
	v_lshlrev_b32_e32 v4, 2, v4
	s_waitcnt vmcnt(0)
	v_mul_f32_e32 v6, s12, v0
	v_mov_b32_e32 v0, v3
	v_pk_mul_f32 v[0:1], v[0:1], s[12:13] op_sel_hi:[1,0]
	v_max_f32_e64 v3, |v6|, |v6|
	v_mul_f32_e32 v5, s12, v2
	v_max_f32_e64 v3, v3, |v1|
	v_max3_f32 v3, v3, |v5|, |v0|
	ds_bpermute_b32 v11, v7, v3
	v_add_f32_e32 v12, v1, v6
	v_fmac_f32_e32 v12, s12, v2
	v_add_f32_e32 v2, v0, v12
	ds_bpermute_b32 v7, v7, v2
	s_waitcnt lgkmcnt(1)
	v_max_f32_e32 v11, v11, v11
	v_max_f32_e32 v3, v3, v11
	ds_bpermute_b32 v11, v10, v3
	s_mov_b32 s12, 0x42fe0000
	s_waitcnt lgkmcnt(1)
	v_add_f32_e32 v2, v2, v7
	ds_bpermute_b32 v8, v10, v2
	s_waitcnt lgkmcnt(1)
	v_max_f32_e32 v7, v11, v11
	v_max_f32_e32 v9, v3, v7
	ds_bpermute_b32 v10, v4, v9
	s_waitcnt lgkmcnt(1)
	v_add_f32_e32 v3, v2, v8
	ds_bpermute_b32 v4, v4, v3
	v_mov_b32_e32 v7, 0
	s_waitcnt lgkmcnt(1)
	v_max_f32_e32 v2, v10, v10
	v_max_f32_e32 v2, v9, v2
	v_div_scale_f32 v8, s[8:9], s12, s12, v2
	v_rcp_f32_e32 v9, v8
	v_div_scale_f32 v10, vcc, v2, s12, v2
	v_fma_f32 v11, -v8, v9, 1.0
	v_fmac_f32_e32 v9, v11, v9
	v_mul_f32_e32 v11, v10, v9
	v_fma_f32 v12, -v8, v11, v10
	v_fmac_f32_e32 v11, v12, v9
	v_fma_f32 v8, -v8, v11, v10
	v_div_fmas_f32 v8, v8, v9, v11
	v_div_fixup_f32 v2, v8, s12, v2
	v_cmp_neq_f32_e32 vcc, 0, v2
	s_and_saveexec_b64 s[8:9], vcc
	s_cbranch_execz .LBB14_5
; %bb.4:
	v_div_scale_f32 v7, s[12:13], v2, v2, v6
	v_rcp_f32_e32 v8, v7
	v_div_scale_f32 v9, vcc, v6, v2, v6
	s_brev_b32 s16, -2
	v_fma_f32 v10, -v7, v8, 1.0
	v_fmac_f32_e32 v8, v10, v8
	v_mul_f32_e32 v10, v9, v8
	v_fma_f32 v11, -v7, v10, v9
	v_fmac_f32_e32 v10, v11, v8
	v_fma_f32 v7, -v7, v10, v9
	v_div_fmas_f32 v7, v7, v8, v10
	v_div_fixup_f32 v6, v7, v2, v6
	v_trunc_f32_e32 v7, v6
	v_sub_f32_e32 v8, v6, v7
	v_cmp_ge_f32_e64 s[12:13], |v8|, 0.5
	v_cndmask_b32_e64 v8, 0, 1.0, s[12:13]
	v_div_scale_f32 v9, s[12:13], v2, v2, v0
	v_rcp_f32_e32 v10, v9
	v_bfi_b32 v6, s16, v8, v6
	v_add_f32_e32 v6, v7, v6
	v_cvt_i32_f32_e32 v6, v6
	v_fma_f32 v7, -v9, v10, 1.0
	v_fmac_f32_e32 v10, v7, v10
	v_div_scale_f32 v7, vcc, v0, v2, v0
	v_mul_f32_e32 v8, v7, v10
	v_fma_f32 v11, -v9, v8, v7
	v_fmac_f32_e32 v8, v11, v10
	v_div_scale_f32 v11, s[12:13], v2, v2, v1
	v_rcp_f32_e32 v12, v11
	v_fma_f32 v7, -v9, v8, v7
	v_div_fmas_f32 v7, v7, v10, v8
	v_div_fixup_f32 v0, v7, v2, v0
	v_fma_f32 v8, -v11, v12, 1.0
	v_fmac_f32_e32 v12, v8, v12
	v_div_scale_f32 v8, vcc, v1, v2, v1
	v_mul_f32_e32 v9, v8, v12
	v_fma_f32 v10, -v11, v9, v8
	v_fmac_f32_e32 v9, v10, v12
	v_div_scale_f32 v10, s[12:13], v2, v2, v5
	v_rcp_f32_e32 v13, v10
	v_fma_f32 v8, -v11, v9, v8
	v_div_fmas_f32 v8, v8, v12, v9
	v_div_fixup_f32 v1, v8, v2, v1
	v_fma_f32 v9, -v10, v13, 1.0
	v_fmac_f32_e32 v13, v9, v13
	v_div_scale_f32 v9, vcc, v5, v2, v5
	v_mul_f32_e32 v11, v9, v13
	v_fma_f32 v12, -v10, v11, v9
	v_fmac_f32_e32 v11, v12, v13
	v_fma_f32 v9, -v10, v11, v9
	v_div_fmas_f32 v9, v9, v13, v11
	v_div_fixup_f32 v5, v9, v2, v5
	v_trunc_f32_e32 v9, v5
	v_sub_f32_e32 v10, v5, v9
	v_trunc_f32_e32 v7, v1
	v_cmp_ge_f32_e64 s[12:13], |v10|, 0.5
	v_sub_f32_e32 v8, v1, v7
	v_cndmask_b32_e64 v10, 0, 1.0, s[12:13]
	v_cmp_ge_f32_e64 s[12:13], |v8|, 0.5
	v_cndmask_b32_e64 v8, 0, 1.0, s[12:13]
	v_bfi_b32 v1, s16, v8, v1
	v_add_f32_e32 v1, v7, v1
	v_trunc_f32_e32 v7, v0
	v_sub_f32_e32 v8, v0, v7
	v_bfi_b32 v5, s16, v10, v5
	v_cmp_ge_f32_e64 s[12:13], |v8|, 0.5
	v_add_f32_e32 v5, v9, v5
	v_cndmask_b32_e64 v8, 0, 1.0, s[12:13]
	v_cvt_i32_f32_e32 v5, v5
	v_bfi_b32 v0, s16, v8, v0
	v_add_f32_e32 v0, v7, v0
	v_cvt_i32_f32_e32 v1, v1
	v_cvt_i32_f32_e32 v0, v0
	v_and_b32_e32 v5, 0xff, v5
	v_lshlrev_b32_e32 v5, 16, v5
	v_mov_b32_e32 v7, 8
	v_lshlrev_b32_sdwa v1, v7, v1 dst_sel:DWORD dst_unused:UNUSED_PAD src0_sel:DWORD src1_sel:BYTE_0
	v_lshl_or_b32 v0, v0, 24, v5
	v_and_b32_e32 v5, 0xff, v6
	v_or3_b32 v7, v0, v1, v5
.LBB14_5:
	s_or_b64 exec, exec, s[8:9]
	v_and_b32_e32 v1, 7, v169
	v_lshlrev_b32_e32 v0, 2, v169
	v_cmp_eq_u32_e32 vcc, 0, v1
	ds_write_b32 v0, v7
	s_and_b64 exec, exec, vcc
	s_cbranch_execz .LBB14_7
; %bb.6:
	s_waitcnt lgkmcnt(1)
	v_add_f32_e32 v3, v3, v4
	ds_write_b64 v169, v[2:3] offset:128
.LBB14_7:
	s_or_b64 exec, exec, s[2:3]
	v_and_b32_e32 v22, 3, v169
	v_lshlrev_b32_e32 v12, 2, v22
	v_mov_b32_e32 v181, 0
	s_waitcnt lgkmcnt(0)
	s_barrier
	ds_read2_b32 v[14:15], v12 offset1:4
	ds_read2_b32 v[16:17], v12 offset0:8 offset1:12
	ds_read_b128 v[0:3], v181 offset:128
	ds_read_b128 v[4:7], v181 offset:144
	ds_read2_b32 v[18:19], v12 offset0:16 offset1:20
	ds_read2_b32 v[20:21], v12 offset0:24 offset1:28
	s_ashr_i32 s41, s40, 31
	s_ashr_i32 s2, s36, 31
	s_ashr_i32 s57, s33, 31
	s_cmp_eq_u64 s[26:27], 0
	s_waitcnt lgkmcnt(0)
	s_barrier
	s_cbranch_scc1 .LBB14_9
; %bb.8:
	s_load_dword s3, s[4:5], 0xd0
	s_mov_b32 s9, 0
	s_waitcnt lgkmcnt(0)
	s_mul_i32 s3, s3, s33
	s_add_i32 s8, s3, s6
	s_lshl_b64 s[8:9], s[8:9], 2
	s_add_u32 s8, s26, s8
	s_addc_u32 s9, s27, s9
	s_load_dword s42, s[8:9], 0x0
.LBB14_9:
	v_lshlrev_b32_e32 v8, 5, v168
	v_add_u32_e32 v171, v8, v169
	s_lshl_b32 s16, s7, 7
	s_mov_b32 s43, 0
	s_waitcnt lgkmcnt(0)
	s_cmp_ge_i32 s16, s42
	v_mov_b32_e32 v186, 0xfeffffff
	v_mov_b32_e32 v185, 0
	v_lshlrev_b32_e32 v173, 1, v171
	v_lshlrev_b32_e32 v174, 2, v169
	v_mov_b32_e32 v13, 0
	s_cbranch_scc1 .LBB14_21
; %bb.10:
	s_load_dwordx4 s[36:39], s[4:5], 0x98
	s_load_dwordx2 s[12:13], s[4:5], 0x8c
	s_xor_b32 s2, s41, s2
	s_mul_i32 s14, s14, s10
	s_mul_i32 s60, s6, s11
	s_waitcnt lgkmcnt(0)
	s_mul_i32 s37, s33, s37
	s_mul_i32 s8, s57, s36
	s_mul_hi_u32 s3, s33, s36
	s_add_i32 s37, s37, s8
	s_add_i32 s49, s37, s3
	s_mul_i32 s3, s15, s45
	s_sub_i32 s3, s46, s3
	s_add_i32 s8, s15, 1
	s_sub_i32 s9, s3, s45
	s_cmp_ge_u32 s3, s45
	s_cselect_b32 s8, s8, s15
	s_cselect_b32 s3, s9, s3
	s_add_i32 s9, s8, 1
	s_cmp_ge_u32 s3, s45
	s_cselect_b32 s3, s9, s8
	s_xor_b32 s3, s3, s2
	s_sub_i32 s51, s3, s2
	s_mul_i32 s13, s51, s13
	s_mul_i32 s51, s51, s39
	s_sub_i32 s2, s44, s14
	s_ashr_i32 s50, s13, 31
	s_ashr_i32 s52, s51, 31
	s_sub_i32 s3, s2, s10
	s_cmp_ge_u32 s2, s10
	s_cselect_b32 s2, s3, s2
	s_sub_i32 s3, s2, s10
	s_cmp_ge_u32 s2, s10
	s_cselect_b32 s8, s3, s2
	s_load_dwordx2 s[46:47], s[4:5], 0xa8
	s_load_dwordx2 s[2:3], s[4:5], 0xc8
	s_xor_b32 s8, s8, s57
	s_sub_i32 s8, s8, s57
	s_load_dword s10, s[4:5], 0xd4
	s_ashr_i32 s9, s8, 31
	s_waitcnt lgkmcnt(0)
	s_mul_i32 s3, s8, s3
	s_mul_hi_u32 s14, s8, s2
	s_add_i32 s3, s14, s3
	s_mul_i32 s9, s9, s2
	s_add_i32 s39, s3, s9
	s_ashr_i32 s61, s60, 31
	v_and_b32_e32 v9, 0x7c, v169
	v_mbcnt_hi_u32_b32 v13, -1, v170
	v_add_u32_e32 v11, v8, v9
	v_and_b32_e32 v9, 0x7c, v13
	s_cmp_lg_u64 s[22:23], 0
	v_add_u32_e32 v10, 4, v9
	v_xor_b32_e32 v9, 2, v13
	s_cselect_b64 s[26:27], -1, 0
	s_lshl_b32 s44, s10, 7
	v_cmp_lt_i32_e32 vcc, v9, v10
	v_xor_b32_e32 v23, 1, v13
	s_add_u32 s53, s18, s13
	s_mul_i32 s48, s33, s36
	v_cndmask_b32_e32 v9, v13, v9, vcc
	v_cmp_lt_i32_e32 vcc, v23, v10
	s_addc_u32 s54, s19, s50
	s_mov_b32 s17, s43
	v_cndmask_b32_e32 v10, v13, v23, vcc
	v_and_b32_e32 v23, 0x60, v13
	s_add_u32 s55, s53, s48
	s_mul_i32 s45, s8, s2
	v_add_u32_e32 v23, 32, v23
	v_cmp_eq_u32_e64 s[2:3], 3, v22
	v_cmp_eq_u32_e64 s[14:15], 0, v22
	;; [unrolled: 1-line block ×4, first 2 shown]
	v_xor_b32_e32 v22, 4, v13
	s_addc_u32 s56, s54, s49
	s_lshl_b64 s[58:59], s[16:17], 1
	v_cmp_lt_i32_e32 vcc, v22, v23
	s_add_u32 s17, s45, s58
	v_cndmask_b32_e32 v24, v13, v22, vcc
	v_xor_b32_e32 v22, 8, v13
	s_addc_u32 s39, s39, s59
	v_cmp_lt_i32_e32 vcc, v22, v23
	s_add_u32 s22, s22, s60
	v_cndmask_b32_e32 v25, v13, v22, vcc
	v_xor_b32_e32 v22, 16, v13
	s_addc_u32 s23, s23, s61
	v_cmp_lt_i32_e32 vcc, v22, v23
	s_add_u32 s17, s22, s17
	v_cndmask_b32_e32 v26, v13, v22, vcc
	v_lshlrev_b32_e32 v22, 1, v11
	s_addc_u32 s22, s23, s39
	v_mov_b32_e32 v23, s22
	v_add_co_u32_e32 v22, vcc, s17, v22
	v_bfe_u32 v27, v169, 3, 27
	v_addc_co_u32_e32 v23, vcc, 0, v23, vcc
	v_add_co_u32_e32 v22, vcc, 6, v22
	v_mul_hi_u32_u24_e32 v29, 34, v27
	v_mul_u32_u24_e32 v28, 34, v27
	s_mul_i32 s17, s33, s47
	s_mul_i32 s57, s57, s46
	v_mov_b32_e32 v27, s46
	v_mul_lo_u32 v13, v8, s38
	v_addc_co_u32_e32 v23, vcc, 0, v23, vcc
	s_add_i32 s17, s17, s57
	v_mad_u64_u32 v[32:33], s[22:23], s33, v27, v[28:29]
	v_ashrrev_i32_e32 v31, 31, v13
	v_add_u32_e32 v27, s17, v33
	v_add_co_u32_e32 v28, vcc, v32, v13
	v_and_b32_e32 v30, 28, v174
	v_addc_co_u32_e32 v29, vcc, v27, v31, vcc
	v_add_co_u32_e32 v36, vcc, v32, v30
	v_addc_co_u32_e32 v37, vcc, 0, v27, vcc
	v_add_co_u32_e32 v30, vcc, v36, v13
	v_addc_co_u32_e32 v31, vcc, v37, v31, vcc
	v_add_u32_e32 v34, s38, v13
	v_mov_b32_e32 v33, s52
	v_add_co_u32_e32 v13, vcc, s51, v32
	v_addc_co_u32_e32 v27, vcc, v27, v33, vcc
	v_ashrrev_i32_e32 v35, 31, v34
	v_add_co_u32_e32 v32, vcc, v13, v34
	v_addc_co_u32_e32 v33, vcc, v27, v35, vcc
	v_mov_b32_e32 v40, s52
	v_add_co_u32_e32 v36, vcc, s51, v36
	v_addc_co_u32_e32 v37, vcc, v37, v40, vcc
	v_add_u32_e32 v38, s38, v34
	v_add_co_u32_e32 v34, vcc, v36, v34
	v_addc_co_u32_e32 v35, vcc, v37, v35, vcc
	v_ashrrev_i32_e32 v39, 31, v38
	v_add_co_u32_e32 v40, vcc, v13, v38
	v_addc_co_u32_e32 v41, vcc, v27, v39, vcc
	v_add_co_u32_e32 v42, vcc, v36, v38
	v_add_u32_e32 v46, s38, v38
	v_addc_co_u32_e32 v43, vcc, v37, v39, vcc
	v_ashrrev_i32_e32 v47, 31, v46
	v_add_co_u32_e32 v44, vcc, v13, v46
	v_addc_co_u32_e32 v45, vcc, v27, v47, vcc
	v_add_u32_e32 v50, s38, v46
	v_add_co_u32_e32 v46, vcc, v36, v46
	v_addc_co_u32_e32 v47, vcc, v37, v47, vcc
	v_ashrrev_i32_e32 v51, 31, v50
	v_add_co_u32_e32 v48, vcc, v13, v50
	v_addc_co_u32_e32 v49, vcc, v27, v51, vcc
	v_add_u32_e32 v54, s38, v50
	v_add_co_u32_e32 v50, vcc, v36, v50
	v_addc_co_u32_e32 v51, vcc, v37, v51, vcc
	v_ashrrev_i32_e32 v55, 31, v54
	v_add_co_u32_e32 v52, vcc, v13, v54
	v_addc_co_u32_e32 v53, vcc, v27, v55, vcc
	v_add_co_u32_e32 v58, vcc, v36, v54
	v_add_u32_e32 v56, s38, v54
	v_addc_co_u32_e32 v59, vcc, v37, v55, vcc
	v_ashrrev_i32_e32 v57, 31, v56
	v_add_co_u32_e32 v60, vcc, v13, v56
	v_addc_co_u32_e32 v61, vcc, v27, v57, vcc
	v_add_co_u32_e32 v62, vcc, v36, v56
	v_add_u32_e32 v66, s38, v56
	v_addc_co_u32_e32 v63, vcc, v37, v57, vcc
	v_ashrrev_i32_e32 v67, 31, v66
	v_add_co_u32_e32 v64, vcc, v13, v66
	v_addc_co_u32_e32 v65, vcc, v27, v67, vcc
	v_add_u32_e32 v70, s38, v66
	v_add_co_u32_e32 v66, vcc, v36, v66
	v_addc_co_u32_e32 v67, vcc, v37, v67, vcc
	v_ashrrev_i32_e32 v71, 31, v70
	v_add_co_u32_e32 v68, vcc, v13, v70
	v_addc_co_u32_e32 v69, vcc, v27, v71, vcc
	v_add_u32_e32 v38, s38, v70
	v_add_co_u32_e32 v70, vcc, v36, v70
	v_addc_co_u32_e32 v71, vcc, v37, v71, vcc
	v_ashrrev_i32_e32 v39, 31, v38
	v_add_co_u32_e32 v74, vcc, v13, v38
	v_addc_co_u32_e32 v75, vcc, v27, v39, vcc
	v_add_co_u32_e32 v76, vcc, v36, v38
	v_add_u32_e32 v54, s38, v38
	v_addc_co_u32_e32 v77, vcc, v37, v39, vcc
	v_ashrrev_i32_e32 v38, 31, v54
	v_add_co_u32_e32 v78, vcc, v13, v54
	v_addc_co_u32_e32 v79, vcc, v27, v38, vcc
	v_add_co_u32_e32 v82, vcc, v36, v54
	v_addc_co_u32_e32 v83, vcc, v37, v38, vcc
	v_add_u32_e32 v38, 31, v8
	v_mul_lo_u32 v38, s38, v38
	v_add_u32_e32 v39, s38, v54
	v_ashrrev_i32_e32 v54, 31, v38
	v_add_co_u32_e32 v86, vcc, v36, v38
	v_addc_co_u32_e32 v87, vcc, v37, v54, vcc
	v_add_co_u32_e32 v88, vcc, v13, v38
	v_add_u32_e32 v38, 30, v8
	v_addc_co_u32_e32 v89, vcc, v27, v54, vcc
	v_mul_lo_u32 v38, s38, v38
	v_ashrrev_i32_e32 v54, 31, v38
	v_add_co_u32_e32 v90, vcc, v36, v38
	v_addc_co_u32_e32 v91, vcc, v37, v54, vcc
	v_add_co_u32_e32 v92, vcc, v13, v38
	v_add_u32_e32 v38, 29, v8
	v_addc_co_u32_e32 v93, vcc, v27, v54, vcc
	v_mul_lo_u32 v38, s38, v38
	;; [unrolled: 7-line block ×11, first 2 shown]
	v_ashrrev_i32_e32 v136, 31, v38
	v_add_co_u32_e32 v137, vcc, v36, v38
	v_add_u32_e32 v56, s38, v39
	v_addc_co_u32_e32 v138, vcc, v37, v136, vcc
	v_add_u32_e32 v54, 19, v8
	v_add_u32_e32 v57, s38, v56
	v_add_co_u32_e32 v139, vcc, v13, v38
	v_mul_lo_u32 v54, s38, v54
	v_add_u32_e32 v72, s38, v57
	v_addc_co_u32_e32 v136, vcc, v27, v136, vcc
	v_ashrrev_i32_e32 v55, 31, v54
	v_add_u32_e32 v73, s38, v72
	v_add_co_u32_e32 v140, vcc, v36, v54
	v_add_u32_e32 v80, s38, v73
	v_addc_co_u32_e32 v141, vcc, v37, v55, vcc
	v_add_u32_e32 v81, s38, v80
	v_add_co_u32_e32 v142, vcc, v13, v54
	v_add_u32_e32 v84, s38, v81
	v_addc_co_u32_e32 v143, vcc, v27, v55, vcc
	v_ashrrev_i32_e32 v85, 31, v84
	v_add_co_u32_e32 v144, vcc, v36, v84
	v_addc_co_u32_e32 v145, vcc, v37, v85, vcc
	v_add_co_u32_e32 v146, vcc, v13, v84
	v_addc_co_u32_e32 v147, vcc, v27, v85, vcc
	v_ashrrev_i32_e32 v130, 31, v81
	v_add_co_u32_e32 v148, vcc, v36, v81
	v_addc_co_u32_e32 v149, vcc, v37, v130, vcc
	v_add_co_u32_e32 v150, vcc, v13, v81
	;; [unrolled: 5-line block ×6, first 2 shown]
	v_addc_co_u32_e32 v167, vcc, v27, v134, vcc
	v_ashrrev_i32_e32 v38, 31, v39
	v_add_co_u32_e32 v84, vcc, v13, v39
	v_addc_co_u32_e32 v85, vcc, v27, v38, vcc
	v_ashrrev_i32_e32 v135, 31, v56
	v_add_co_u32_e32 v181, vcc, v13, v56
	v_addc_co_u32_e32 v182, vcc, v27, v135, vcc
	v_add_co_u32_e32 v183, vcc, v36, v56
	v_addc_co_u32_e32 v184, vcc, v37, v135, vcc
	v_mul_lo_u32 v11, v11, s12
	v_add_co_u32_e32 v185, vcc, v36, v39
	v_add_u32_e32 v56, s12, v11
	v_addc_co_u32_e32 v186, vcc, v37, v38, vcc
	v_mov_b32_e32 v13, 0
	v_add_u32_e32 v38, s12, v56
	v_mov_b32_e32 v36, s36
	v_add_u32_e32 v27, s12, v38
	v_mad_u64_u32 v[54:55], s[22:23], s33, v36, v[12:13]
	v_add_u32_e32 v55, s37, v55
	v_lshlrev_b32_e32 v175, 2, v9
	v_lshlrev_b32_e32 v180, 1, v8
	v_ashrrev_i32_e32 v8, 31, v27
	v_add_co_u32_e32 v9, vcc, v54, v27
	v_lshlrev_b32_e32 v176, 2, v10
	v_addc_co_u32_e32 v10, vcc, v55, v8, vcc
	s_mov_b32 s45, s43
	v_lshlrev_b32_e32 v177, 2, v24
	v_lshlrev_b32_e32 v178, 2, v25
	v_mov_b32_e32 v25, s54
	v_add_co_u32_e32 v24, vcc, s53, v9
	v_addc_co_u32_e32 v25, vcc, v25, v10, vcc
	s_lshl_b64 s[22:23], s[44:45], 1
	s_mul_i32 s36, s16, s12
	s_mul_i32 s39, s44, s12
	v_lshlrev_b32_e32 v179, 2, v26
	v_mov_b32_e32 v9, s56
	v_add_co_u32_e32 v26, vcc, s55, v27
	s_add_u32 s12, s20, s51
	v_addc_co_u32_e32 v27, vcc, v9, v8, vcc
	s_addc_u32 s45, s21, s52
	v_mov_b32_e32 v8, s45
	v_add_co_u32_e32 v28, vcc, s12, v28
	v_addc_co_u32_e32 v29, vcc, v8, v29, vcc
	v_add_co_u32_e32 v30, vcc, s12, v30
	v_addc_co_u32_e32 v31, vcc, v8, v31, vcc
	v_mov_b32_e32 v8, s21
	v_add_co_u32_e32 v32, vcc, s20, v32
	v_addc_co_u32_e32 v33, vcc, v8, v33, vcc
	v_add_co_u32_e32 v34, vcc, s20, v34
	v_addc_co_u32_e32 v35, vcc, v8, v35, vcc
	v_ashrrev_i32_e32 v8, 31, v38
	v_add_co_u32_e32 v9, vcc, v54, v38
	v_addc_co_u32_e32 v10, vcc, v55, v8, vcc
	v_mov_b32_e32 v37, s54
	v_add_co_u32_e32 v36, vcc, s53, v9
	v_addc_co_u32_e32 v37, vcc, v37, v10, vcc
	v_mov_b32_e32 v9, s56
	;; [unrolled: 3-line block ×3, first 2 shown]
	v_add_co_u32_e32 v40, vcc, s20, v40
	v_addc_co_u32_e32 v41, vcc, v8, v41, vcc
	v_add_co_u32_e32 v42, vcc, s20, v42
	v_addc_co_u32_e32 v43, vcc, v8, v43, vcc
	v_add_co_u32_e32 v44, vcc, s20, v44
	v_addc_co_u32_e32 v45, vcc, v8, v45, vcc
	v_add_co_u32_e32 v46, vcc, s20, v46
	v_addc_co_u32_e32 v47, vcc, v8, v47, vcc
	v_add_co_u32_e32 v48, vcc, s20, v48
	v_addc_co_u32_e32 v49, vcc, v8, v49, vcc
	v_add_co_u32_e32 v50, vcc, s20, v50
	v_addc_co_u32_e32 v51, vcc, v8, v51, vcc
	v_add_co_u32_e32 v52, vcc, s20, v52
	v_addc_co_u32_e32 v53, vcc, v8, v53, vcc
	v_mov_b32_e32 v8, s50
	v_add_co_u32_e32 v9, vcc, s13, v54
	v_addc_co_u32_e32 v8, vcc, v55, v8, vcc
	v_ashrrev_i32_e32 v10, 31, v56
	v_add_co_u32_e32 v54, vcc, v54, v56
	v_addc_co_u32_e32 v55, vcc, v55, v10, vcc
	v_mov_b32_e32 v57, s54
	v_add_co_u32_e32 v54, vcc, s53, v54
	v_addc_co_u32_e32 v55, vcc, v57, v55, vcc
	v_mov_b32_e32 v57, s56
	v_add_co_u32_e32 v56, vcc, s55, v56
	v_addc_co_u32_e32 v57, vcc, v57, v10, vcc
	v_mov_b32_e32 v10, s21
	v_add_co_u32_e32 v58, vcc, s20, v58
	v_addc_co_u32_e32 v59, vcc, v10, v59, vcc
	v_add_co_u32_e32 v60, vcc, s20, v60
	v_addc_co_u32_e32 v61, vcc, v10, v61, vcc
	;; [unrolled: 2-line block ×7, first 2 shown]
	v_ashrrev_i32_e32 v10, 31, v11
	v_add_co_u32_e32 v9, vcc, v9, v11
	v_addc_co_u32_e32 v8, vcc, v8, v10, vcc
	v_mov_b32_e32 v73, s19
	v_add_co_u32_e32 v72, vcc, s18, v9
	v_addc_co_u32_e32 v73, vcc, v73, v8, vcc
	v_mov_b32_e32 v8, s21
	v_add_co_u32_e32 v74, vcc, s20, v74
	v_addc_co_u32_e32 v75, vcc, v8, v75, vcc
	v_add_co_u32_e32 v76, vcc, s20, v76
	s_add_u32 s12, s48, s13
	v_addc_co_u32_e32 v77, vcc, v8, v77, vcc
	s_addc_u32 s13, s49, s50
	v_add_co_u32_e32 v78, vcc, s20, v78
	s_add_u32 s12, s18, s12
	v_addc_co_u32_e32 v79, vcc, v8, v79, vcc
	s_addc_u32 s13, s19, s13
	v_mov_b32_e32 v8, s13
	v_add_co_u32_e32 v80, vcc, s12, v11
	v_addc_co_u32_e32 v81, vcc, v8, v10, vcc
	v_mov_b32_e32 v8, s21
	v_add_co_u32_e32 v82, vcc, s20, v82
	v_addc_co_u32_e32 v83, vcc, v8, v83, vcc
	v_add_co_u32_e32 v84, vcc, s20, v84
	v_addc_co_u32_e32 v85, vcc, v8, v85, vcc
	;; [unrolled: 2-line block ×42, first 2 shown]
	v_add_co_u32_e32 v166, vcc, s20, v185
	s_mul_i32 s17, s16, s38
	s_mov_b32 s37, s43
	s_mov_b32 s46, s43
	s_mul_i32 s38, s44, s38
	s_mov_b32 s47, s43
	v_addc_co_u32_e32 v167, vcc, v8, v186, vcc
	s_mov_b32 s18, 0x1000706
	s_mov_b32 s19, 0x3fb8aa3b
	;; [unrolled: 1-line block ×4, first 2 shown]
	v_add_f32_e32 v1, v1, v1
	v_or_b32_e32 v182, 16, v12
	v_add_f32_e32 v3, v3, v3
	v_add_f32_e32 v5, v5, v5
	;; [unrolled: 1-line block ×3, first 2 shown]
	v_mov_b32_e32 v8, 0xfeffffff
	v_mov_b32_e32 v183, 0x7f800000
	;; [unrolled: 1-line block ×4, first 2 shown]
                                        ; implicit-def: $vgpr184
.LBB14_11:                              ; =>This Inner Loop Header: Depth=1
	v_mov_b32_e32 v9, s37
	v_add_co_u32_e32 v10, vcc, s36, v80
	v_addc_co_u32_e32 v11, vcc, v81, v9, vcc
	v_add_co_u32_e32 v186, vcc, s36, v72
	v_addc_co_u32_e32 v187, vcc, v73, v9, vcc
	global_load_dword v9, v[10:11], off
	global_load_ushort v188, v[10:11], off offset:4
	global_load_dword v189, v[186:187], off offset:6
	global_load_dword v190, v[10:11], off offset:22
	global_load_ushort v191, v[10:11], off offset:26
	global_load_dword v192, v[186:187], off offset:28
	global_load_dword v193, v[10:11], off offset:44
	global_load_ushort v194, v[10:11], off offset:48
	global_load_dword v195, v[186:187], off offset:50
	s_nop 0
	global_load_dword v186, v[186:187], off offset:72
	s_nop 0
	;; [unrolled: 2-line block ×3, first 2 shown]
	global_load_ushort v10, v[10:11], off offset:70
	v_mov_b32_e32 v196, 0
	v_mov_b32_e32 v197, 0
	;; [unrolled: 1-line block ×4, first 2 shown]
	s_and_b64 vcc, exec, s[26:27]
	s_waitcnt vmcnt(10)
	v_perm_b32 v11, v9, v188, s18
	v_ashrrev_i32_e32 v202, v12, v11
	v_ashrrev_i32_e32 v11, v182, v11
	s_waitcnt vmcnt(7)
	v_perm_b32 v191, v190, v191, s18
	v_lshlrev_b32_e32 v205, 4, v202
	v_lshlrev_b32_e32 v206, 11, v202
	;; [unrolled: 1-line block ×4, first 2 shown]
	v_and_b32_e32 v188, 0xf0f0f0f, v189
	v_lshrrev_b32_e32 v189, 4, v189
	v_ashrrev_i32_e32 v203, v12, v191
	v_lshlrev_b32_e32 v208, 4, v11
	v_lshlrev_b32_e32 v209, 11, v11
	;; [unrolled: 1-line block ×4, first 2 shown]
	v_and_b32_e32 v207, 0x100000, v207
	v_and_b32_e32 v202, 0x10000000, v202
	;; [unrolled: 1-line block ×3, first 2 shown]
	v_lshlrev_b32_e32 v211, 4, v203
	v_lshlrev_b32_e32 v212, 11, v203
	;; [unrolled: 1-line block ×4, first 2 shown]
	v_and_b32_e32 v205, 16, v205
	v_and_b32_e32 v206, 0x1000, v206
	;; [unrolled: 1-line block ×4, first 2 shown]
	v_or3_b32 v188, v202, v188, v207
	s_waitcnt vmcnt(6)
	v_and_b32_e32 v200, 0xf0f0f0f, v192
	v_and_b32_e32 v208, 16, v208
	;; [unrolled: 1-line block ×5, first 2 shown]
	v_or3_b32 v11, v11, v189, v210
	v_or3_b32 v188, v188, v205, v206
	v_and_b32_e32 v211, 16, v211
	v_and_b32_e32 v212, 0x1000, v212
	v_or3_b32 v189, v203, v200, v213
	v_or3_b32 v11, v11, v208, v209
	v_dot4c_i32_i8_e32 v196, v188, v14
	v_or3_b32 v189, v189, v211, v212
	v_dot4c_i32_i8_e32 v197, v11, v15
	v_dot4c_i32_i8_e32 v198, v189, v16
	v_cvt_f32_i32_e32 v11, v196
	s_waitcnt vmcnt(4)
	v_perm_b32 v194, v193, v194, s18
	v_cvt_f32_i32_e32 v188, v197
	v_cvt_f32_i32_e32 v189, v198
	v_fma_f32 v11, v0, v11, -v1
	v_fma_mix_f32 v11, v11, v9, 0 op_sel_hi:[0,1,0]
	v_fma_f32 v188, v0, v188, -v1
	v_ashrrev_i32_e32 v204, v12, v194
	v_fma_f32 v189, v2, v189, -v3
	v_fma_mix_f32 v9, v188, v9, v11 op_sel_hi:[0,1,0]
	v_fma_mix_f32 v9, v189, v190, v9 op_sel_hi:[0,1,0]
	v_lshlrev_b32_e32 v188, 18, v204
	v_lshlrev_b32_e32 v189, 25, v204
	s_waitcnt vmcnt(3)
	v_and_b32_e32 v201, 0xf0f0f0f, v195
	v_lshlrev_b32_e32 v217, 4, v204
	v_lshlrev_b32_e32 v11, 11, v204
	v_and_b32_e32 v188, 0x100000, v188
	v_and_b32_e32 v189, 0x10000000, v189
	v_ashrrev_i32_e32 v191, v182, v191
	v_and_b32_e32 v217, 16, v217
	v_and_b32_e32 v11, 0x1000, v11
	v_or3_b32 v188, v189, v201, v188
	v_lshrrev_b32_e32 v192, 4, v192
	v_lshlrev_b32_e32 v214, 4, v191
	v_lshlrev_b32_e32 v215, 11, v191
	;; [unrolled: 1-line block ×4, first 2 shown]
	v_or3_b32 v11, v188, v217, v11
	v_mov_b32_e32 v188, 0
	v_and_b32_e32 v192, 0xf0f0f0f, v192
	v_and_b32_e32 v216, 0x100000, v216
	;; [unrolled: 1-line block ×3, first 2 shown]
	v_dot4c_i32_i8_e32 v188, v11, v18
	v_ashrrev_i32_e32 v189, v182, v194
	v_and_b32_e32 v214, 16, v214
	v_and_b32_e32 v215, 0x1000, v215
	v_or3_b32 v191, v191, v192, v216
	v_cvt_f32_i32_e32 v11, v188
	v_lshrrev_b32_e32 v188, 4, v195
	v_lshlrev_b32_e32 v192, 4, v189
	v_lshlrev_b32_e32 v194, 11, v189
	;; [unrolled: 1-line block ×4, first 2 shown]
	v_or3_b32 v191, v191, v214, v215
	v_and_b32_e32 v188, 0xf0f0f0f, v188
	v_and_b32_e32 v195, 0x100000, v195
	v_and_b32_e32 v189, 0x10000000, v189
	v_dot4c_i32_i8_e32 v199, v191, v17
	v_and_b32_e32 v192, 16, v192
	v_and_b32_e32 v194, 0x1000, v194
	v_or3_b32 v188, v189, v188, v195
	v_cvt_f32_i32_e32 v191, v199
	v_or3_b32 v188, v188, v192, v194
	v_mov_b32_e32 v189, 0
	v_dot4c_i32_i8_e32 v189, v188, v19
	v_fma_f32 v191, v2, v191, -v3
	v_fma_mix_f32 v9, v191, v190, v9 op_sel_hi:[0,1,0]
	v_fma_f32 v11, v4, v11, -v5
	v_cvt_f32_i32_e32 v188, v189
	s_waitcnt vmcnt(0)
	v_perm_b32 v10, v187, v10, s18
	v_fma_mix_f32 v9, v11, v193, v9 op_sel_hi:[0,1,0]
	v_and_b32_e32 v190, 0xf0f0f0f, v186
	v_fma_f32 v11, v4, v188, -v5
	v_ashrrev_i32_e32 v188, v12, v10
	v_lshlrev_b32_e32 v189, 4, v188
	v_lshlrev_b32_e32 v191, 11, v188
	;; [unrolled: 1-line block ×4, first 2 shown]
	v_and_b32_e32 v192, 0x100000, v192
	v_and_b32_e32 v188, 0x10000000, v188
	;; [unrolled: 1-line block ×4, first 2 shown]
	v_or3_b32 v188, v188, v190, v192
	v_or3_b32 v188, v188, v189, v191
	v_mov_b32_e32 v189, 0
	v_dot4c_i32_i8_e32 v189, v188, v20
	v_ashrrev_i32_e32 v10, v182, v10
	v_lshrrev_b32_e32 v186, 4, v186
	v_lshlrev_b32_e32 v190, 11, v10
	v_cvt_f32_i32_e32 v188, v189
	v_lshlrev_b32_e32 v189, 4, v10
	v_lshlrev_b32_e32 v191, 18, v10
	;; [unrolled: 1-line block ×3, first 2 shown]
	v_and_b32_e32 v186, 0xf0f0f0f, v186
	v_and_b32_e32 v191, 0x100000, v191
	v_and_b32_e32 v10, 0x10000000, v10
	v_and_b32_e32 v189, 16, v189
	v_and_b32_e32 v190, 0x1000, v190
	v_or3_b32 v10, v10, v186, v191
	v_or3_b32 v10, v10, v189, v190
	v_mov_b32_e32 v186, 0
	v_dot4c_i32_i8_e32 v186, v10, v21
	v_fma_mix_f32 v9, v11, v193, v9 op_sel_hi:[0,1,0]
	v_fma_f32 v11, v6, v188, -v7
	v_fma_mix_f32 v9, v11, v187, v9 op_sel_hi:[0,1,0]
	v_cvt_f32_i32_e32 v10, v186
	v_fma_f32 v10, v6, v10, -v7
	v_fma_mix_f32 v9, v10, v187, v9 op_sel_hi:[0,1,0]
	ds_bpermute_b32 v10, v175, v9
	s_waitcnt lgkmcnt(0)
	v_add_f32_e32 v9, v9, v10
	ds_bpermute_b32 v10, v176, v9
	s_waitcnt lgkmcnt(0)
	v_add_f32_e32 v9, v9, v10
	s_cbranch_vccz .LBB14_13
; %bb.12:                               ;   in Loop: Header=BB14_11 Depth=1
	global_load_ushort v10, v[22:23], off offset:-6
	s_waitcnt vmcnt(0)
	v_fma_mix_f32 v9, v172, v10, v9 op_sel_hi:[0,1,0]
.LBB14_13:                              ;   in Loop: Header=BB14_11 Depth=1
	v_mov_b32_e32 v187, s37
	v_add_co_u32_e32 v10, vcc, s36, v56
	v_addc_co_u32_e32 v11, vcc, v57, v187, vcc
	v_add_co_u32_e32 v186, vcc, s36, v54
	v_addc_co_u32_e32 v187, vcc, v55, v187, vcc
	global_load_dword v188, v[10:11], off
	global_load_ushort v189, v[10:11], off offset:4
	global_load_dword v190, v[186:187], off offset:6
	global_load_dword v191, v[10:11], off offset:22
	global_load_ushort v192, v[10:11], off offset:26
	global_load_dword v193, v[186:187], off offset:28
	global_load_dword v194, v[10:11], off offset:44
	global_load_ushort v195, v[10:11], off offset:48
	global_load_dword v196, v[186:187], off offset:50
	s_nop 0
	global_load_dword v186, v[186:187], off offset:72
	s_nop 0
	;; [unrolled: 2-line block ×3, first 2 shown]
	global_load_ushort v10, v[10:11], off offset:70
	v_mov_b32_e32 v197, 0
	v_mov_b32_e32 v198, 0
	;; [unrolled: 1-line block ×4, first 2 shown]
	s_andn2_b64 vcc, exec, s[26:27]
	s_waitcnt vmcnt(10)
	v_perm_b32 v11, v188, v189, s18
	v_ashrrev_i32_e32 v203, v12, v11
	v_ashrrev_i32_e32 v11, v182, v11
	s_waitcnt vmcnt(7)
	v_perm_b32 v192, v191, v192, s18
	v_lshlrev_b32_e32 v206, 4, v203
	v_lshlrev_b32_e32 v207, 11, v203
	;; [unrolled: 1-line block ×4, first 2 shown]
	v_and_b32_e32 v189, 0xf0f0f0f, v190
	v_lshrrev_b32_e32 v190, 4, v190
	v_ashrrev_i32_e32 v204, v12, v192
	v_lshlrev_b32_e32 v209, 4, v11
	v_lshlrev_b32_e32 v210, 11, v11
	;; [unrolled: 1-line block ×4, first 2 shown]
	v_and_b32_e32 v208, 0x100000, v208
	v_and_b32_e32 v203, 0x10000000, v203
	;; [unrolled: 1-line block ×3, first 2 shown]
	v_lshlrev_b32_e32 v212, 4, v204
	v_lshlrev_b32_e32 v213, 11, v204
	;; [unrolled: 1-line block ×4, first 2 shown]
	v_and_b32_e32 v206, 16, v206
	v_and_b32_e32 v207, 0x1000, v207
	;; [unrolled: 1-line block ×4, first 2 shown]
	v_or3_b32 v189, v203, v189, v208
	s_waitcnt vmcnt(6)
	v_and_b32_e32 v201, 0xf0f0f0f, v193
	v_and_b32_e32 v209, 16, v209
	;; [unrolled: 1-line block ×5, first 2 shown]
	v_or3_b32 v11, v11, v190, v211
	v_or3_b32 v189, v189, v206, v207
	v_and_b32_e32 v212, 16, v212
	v_and_b32_e32 v213, 0x1000, v213
	v_or3_b32 v190, v204, v201, v214
	v_or3_b32 v11, v11, v209, v210
	v_dot4c_i32_i8_e32 v197, v189, v14
	v_or3_b32 v190, v190, v212, v213
	v_dot4c_i32_i8_e32 v198, v11, v15
	v_dot4c_i32_i8_e32 v199, v190, v16
	v_cvt_f32_i32_e32 v11, v197
	s_waitcnt vmcnt(4)
	v_perm_b32 v195, v194, v195, s18
	v_cvt_f32_i32_e32 v189, v198
	v_cvt_f32_i32_e32 v190, v199
	v_fma_f32 v11, v0, v11, -v1
	v_fma_mix_f32 v11, v11, v188, 0 op_sel_hi:[0,1,0]
	v_fma_f32 v189, v0, v189, -v1
	v_ashrrev_i32_e32 v205, v12, v195
	v_fma_f32 v190, v2, v190, -v3
	v_fma_mix_f32 v11, v189, v188, v11 op_sel_hi:[0,1,0]
	v_fma_mix_f32 v11, v190, v191, v11 op_sel_hi:[0,1,0]
	v_lshlrev_b32_e32 v189, 18, v205
	v_lshlrev_b32_e32 v190, 25, v205
	s_waitcnt vmcnt(3)
	v_and_b32_e32 v202, 0xf0f0f0f, v196
	v_lshlrev_b32_e32 v218, 4, v205
	v_lshlrev_b32_e32 v188, 11, v205
	v_and_b32_e32 v189, 0x100000, v189
	v_and_b32_e32 v190, 0x10000000, v190
	v_ashrrev_i32_e32 v192, v182, v192
	v_and_b32_e32 v218, 16, v218
	v_and_b32_e32 v188, 0x1000, v188
	v_or3_b32 v189, v190, v202, v189
	v_lshrrev_b32_e32 v193, 4, v193
	v_lshlrev_b32_e32 v215, 4, v192
	v_lshlrev_b32_e32 v216, 11, v192
	;; [unrolled: 1-line block ×4, first 2 shown]
	v_or3_b32 v188, v189, v218, v188
	v_mov_b32_e32 v189, 0
	v_and_b32_e32 v193, 0xf0f0f0f, v193
	v_and_b32_e32 v217, 0x100000, v217
	;; [unrolled: 1-line block ×3, first 2 shown]
	v_dot4c_i32_i8_e32 v189, v188, v18
	v_ashrrev_i32_e32 v190, v182, v195
	v_and_b32_e32 v215, 16, v215
	v_and_b32_e32 v216, 0x1000, v216
	v_or3_b32 v192, v192, v193, v217
	v_cvt_f32_i32_e32 v188, v189
	v_lshrrev_b32_e32 v189, 4, v196
	v_lshlrev_b32_e32 v193, 4, v190
	v_lshlrev_b32_e32 v195, 11, v190
	;; [unrolled: 1-line block ×4, first 2 shown]
	v_or3_b32 v192, v192, v215, v216
	v_and_b32_e32 v189, 0xf0f0f0f, v189
	v_and_b32_e32 v196, 0x100000, v196
	;; [unrolled: 1-line block ×3, first 2 shown]
	v_dot4c_i32_i8_e32 v200, v192, v17
	v_and_b32_e32 v193, 16, v193
	v_and_b32_e32 v195, 0x1000, v195
	v_or3_b32 v189, v190, v189, v196
	v_cvt_f32_i32_e32 v192, v200
	v_or3_b32 v189, v189, v193, v195
	v_mov_b32_e32 v190, 0
	v_dot4c_i32_i8_e32 v190, v189, v19
	v_fma_f32 v192, v2, v192, -v3
	v_fma_mix_f32 v11, v192, v191, v11 op_sel_hi:[0,1,0]
	v_fma_f32 v188, v4, v188, -v5
	v_cvt_f32_i32_e32 v189, v190
	s_waitcnt vmcnt(0)
	v_perm_b32 v10, v187, v10, s18
	v_fma_mix_f32 v11, v188, v194, v11 op_sel_hi:[0,1,0]
	v_and_b32_e32 v191, 0xf0f0f0f, v186
	v_fma_f32 v188, v4, v189, -v5
	v_ashrrev_i32_e32 v189, v12, v10
	v_lshlrev_b32_e32 v190, 4, v189
	v_lshlrev_b32_e32 v192, 11, v189
	;; [unrolled: 1-line block ×4, first 2 shown]
	v_and_b32_e32 v193, 0x100000, v193
	v_and_b32_e32 v189, 0x10000000, v189
	;; [unrolled: 1-line block ×4, first 2 shown]
	v_or3_b32 v189, v189, v191, v193
	v_or3_b32 v189, v189, v190, v192
	v_mov_b32_e32 v190, 0
	v_dot4c_i32_i8_e32 v190, v189, v20
	v_ashrrev_i32_e32 v10, v182, v10
	v_lshrrev_b32_e32 v186, 4, v186
	v_lshlrev_b32_e32 v191, 11, v10
	v_cvt_f32_i32_e32 v189, v190
	v_lshlrev_b32_e32 v190, 4, v10
	v_lshlrev_b32_e32 v192, 18, v10
	;; [unrolled: 1-line block ×3, first 2 shown]
	v_and_b32_e32 v186, 0xf0f0f0f, v186
	v_and_b32_e32 v192, 0x100000, v192
	;; [unrolled: 1-line block ×5, first 2 shown]
	v_or3_b32 v10, v10, v186, v192
	v_or3_b32 v10, v10, v190, v191
	v_mov_b32_e32 v186, 0
	v_dot4c_i32_i8_e32 v186, v10, v21
	v_fma_mix_f32 v11, v188, v194, v11 op_sel_hi:[0,1,0]
	s_nop 1
	v_cvt_f32_i32_e32 v10, v186
	v_fma_f32 v186, v6, v189, -v7
	v_fma_mix_f32 v11, v186, v187, v11 op_sel_hi:[0,1,0]
	v_cndmask_b32_e64 v186, 0, 1, s[26:27]
	v_fma_f32 v10, v6, v10, -v7
	v_fma_mix_f32 v10, v10, v187, v11 op_sel_hi:[0,1,0]
	ds_bpermute_b32 v11, v175, v10
	v_cmp_ne_u32_e64 s[12:13], 1, v186
	s_waitcnt lgkmcnt(0)
	v_add_f32_e32 v10, v10, v11
	ds_bpermute_b32 v11, v176, v10
	s_waitcnt lgkmcnt(0)
	v_add_f32_e32 v10, v10, v11
	s_cbranch_vccnz .LBB14_15
; %bb.14:                               ;   in Loop: Header=BB14_11 Depth=1
	global_load_ushort v11, v[22:23], off offset:-4
	s_waitcnt vmcnt(0)
	v_fma_mix_f32 v10, v172, v11, v10 op_sel_hi:[0,1,0]
.LBB14_15:                              ;   in Loop: Header=BB14_11 Depth=1
	v_mov_b32_e32 v11, s37
	v_add_co_u32_e32 v186, vcc, s36, v38
	v_addc_co_u32_e32 v187, vcc, v39, v11, vcc
	v_add_co_u32_e32 v188, vcc, s36, v36
	v_addc_co_u32_e32 v189, vcc, v37, v11, vcc
	global_load_dword v11, v[186:187], off
	global_load_ushort v190, v[186:187], off offset:4
	global_load_dword v191, v[188:189], off offset:6
	global_load_dword v192, v[186:187], off offset:22
	global_load_ushort v193, v[186:187], off offset:26
	global_load_dword v194, v[188:189], off offset:28
	global_load_dword v195, v[186:187], off offset:44
	global_load_ushort v196, v[186:187], off offset:48
	global_load_dword v197, v[188:189], off offset:50
	s_nop 0
	global_load_dword v188, v[188:189], off offset:72
	s_nop 0
	;; [unrolled: 2-line block ×3, first 2 shown]
	global_load_ushort v186, v[186:187], off offset:70
	v_mov_b32_e32 v198, 0
	v_mov_b32_e32 v199, 0
	;; [unrolled: 1-line block ×4, first 2 shown]
	s_and_b64 vcc, exec, s[12:13]
	s_waitcnt vmcnt(10)
	v_perm_b32 v187, v11, v190, s18
	v_ashrrev_i32_e32 v204, v12, v187
	v_ashrrev_i32_e32 v187, v182, v187
	s_waitcnt vmcnt(7)
	v_perm_b32 v193, v192, v193, s18
	v_lshlrev_b32_e32 v207, 4, v204
	v_lshlrev_b32_e32 v208, 11, v204
	;; [unrolled: 1-line block ×4, first 2 shown]
	v_and_b32_e32 v190, 0xf0f0f0f, v191
	v_lshrrev_b32_e32 v191, 4, v191
	v_ashrrev_i32_e32 v205, v12, v193
	v_lshlrev_b32_e32 v210, 4, v187
	v_lshlrev_b32_e32 v211, 11, v187
	;; [unrolled: 1-line block ×4, first 2 shown]
	v_and_b32_e32 v209, 0x100000, v209
	v_and_b32_e32 v204, 0x10000000, v204
	;; [unrolled: 1-line block ×3, first 2 shown]
	v_lshlrev_b32_e32 v213, 4, v205
	v_lshlrev_b32_e32 v214, 11, v205
	;; [unrolled: 1-line block ×4, first 2 shown]
	v_and_b32_e32 v207, 16, v207
	v_and_b32_e32 v208, 0x1000, v208
	;; [unrolled: 1-line block ×4, first 2 shown]
	v_or3_b32 v190, v204, v190, v209
	s_waitcnt vmcnt(6)
	v_and_b32_e32 v202, 0xf0f0f0f, v194
	v_and_b32_e32 v210, 16, v210
	;; [unrolled: 1-line block ×5, first 2 shown]
	v_or3_b32 v187, v187, v191, v212
	v_or3_b32 v190, v190, v207, v208
	v_and_b32_e32 v213, 16, v213
	v_and_b32_e32 v214, 0x1000, v214
	v_or3_b32 v191, v205, v202, v215
	v_or3_b32 v187, v187, v210, v211
	v_dot4c_i32_i8_e32 v198, v190, v14
	v_or3_b32 v191, v191, v213, v214
	v_dot4c_i32_i8_e32 v199, v187, v15
	v_dot4c_i32_i8_e32 v200, v191, v16
	v_cvt_f32_i32_e32 v187, v198
	s_waitcnt vmcnt(4)
	v_perm_b32 v196, v195, v196, s18
	v_cvt_f32_i32_e32 v190, v199
	v_cvt_f32_i32_e32 v191, v200
	v_fma_f32 v187, v0, v187, -v1
	v_fma_mix_f32 v187, v187, v11, 0 op_sel_hi:[0,1,0]
	v_fma_f32 v190, v0, v190, -v1
	v_ashrrev_i32_e32 v206, v12, v196
	v_fma_f32 v191, v2, v191, -v3
	v_fma_mix_f32 v11, v190, v11, v187 op_sel_hi:[0,1,0]
	v_fma_mix_f32 v11, v191, v192, v11 op_sel_hi:[0,1,0]
	v_lshlrev_b32_e32 v190, 18, v206
	v_lshlrev_b32_e32 v191, 25, v206
	s_waitcnt vmcnt(3)
	v_and_b32_e32 v203, 0xf0f0f0f, v197
	v_lshlrev_b32_e32 v219, 4, v206
	v_lshlrev_b32_e32 v187, 11, v206
	v_and_b32_e32 v190, 0x100000, v190
	v_and_b32_e32 v191, 0x10000000, v191
	v_ashrrev_i32_e32 v193, v182, v193
	v_and_b32_e32 v219, 16, v219
	v_and_b32_e32 v187, 0x1000, v187
	v_or3_b32 v190, v191, v203, v190
	v_lshrrev_b32_e32 v194, 4, v194
	v_lshlrev_b32_e32 v216, 4, v193
	v_lshlrev_b32_e32 v217, 11, v193
	;; [unrolled: 1-line block ×4, first 2 shown]
	v_or3_b32 v187, v190, v219, v187
	v_mov_b32_e32 v190, 0
	v_and_b32_e32 v194, 0xf0f0f0f, v194
	v_and_b32_e32 v218, 0x100000, v218
	;; [unrolled: 1-line block ×3, first 2 shown]
	v_dot4c_i32_i8_e32 v190, v187, v18
	v_ashrrev_i32_e32 v191, v182, v196
	v_and_b32_e32 v216, 16, v216
	v_and_b32_e32 v217, 0x1000, v217
	v_or3_b32 v193, v193, v194, v218
	v_cvt_f32_i32_e32 v187, v190
	v_lshrrev_b32_e32 v190, 4, v197
	v_lshlrev_b32_e32 v194, 4, v191
	v_lshlrev_b32_e32 v196, 11, v191
	;; [unrolled: 1-line block ×4, first 2 shown]
	v_or3_b32 v193, v193, v216, v217
	v_and_b32_e32 v190, 0xf0f0f0f, v190
	v_and_b32_e32 v197, 0x100000, v197
	;; [unrolled: 1-line block ×3, first 2 shown]
	v_dot4c_i32_i8_e32 v201, v193, v17
	v_and_b32_e32 v194, 16, v194
	v_and_b32_e32 v196, 0x1000, v196
	v_or3_b32 v190, v191, v190, v197
	v_cvt_f32_i32_e32 v193, v201
	v_or3_b32 v190, v190, v194, v196
	v_mov_b32_e32 v191, 0
	v_dot4c_i32_i8_e32 v191, v190, v19
	v_fma_f32 v193, v2, v193, -v3
	v_fma_mix_f32 v11, v193, v192, v11 op_sel_hi:[0,1,0]
	v_fma_f32 v187, v4, v187, -v5
	v_cvt_f32_i32_e32 v190, v191
	s_waitcnt vmcnt(0)
	v_perm_b32 v186, v189, v186, s18
	v_fma_mix_f32 v11, v187, v195, v11 op_sel_hi:[0,1,0]
	v_and_b32_e32 v192, 0xf0f0f0f, v188
	v_fma_f32 v187, v4, v190, -v5
	v_ashrrev_i32_e32 v190, v12, v186
	v_lshlrev_b32_e32 v191, 4, v190
	v_lshlrev_b32_e32 v193, 11, v190
	;; [unrolled: 1-line block ×4, first 2 shown]
	v_and_b32_e32 v194, 0x100000, v194
	v_and_b32_e32 v190, 0x10000000, v190
	v_and_b32_e32 v191, 16, v191
	v_and_b32_e32 v193, 0x1000, v193
	v_or3_b32 v190, v190, v192, v194
	v_or3_b32 v190, v190, v191, v193
	v_mov_b32_e32 v191, 0
	v_dot4c_i32_i8_e32 v191, v190, v20
	v_ashrrev_i32_e32 v186, v182, v186
	v_lshrrev_b32_e32 v188, 4, v188
	v_lshlrev_b32_e32 v192, 11, v186
	v_cvt_f32_i32_e32 v190, v191
	v_lshlrev_b32_e32 v191, 4, v186
	v_lshlrev_b32_e32 v193, 18, v186
	;; [unrolled: 1-line block ×3, first 2 shown]
	v_and_b32_e32 v188, 0xf0f0f0f, v188
	v_and_b32_e32 v193, 0x100000, v193
	;; [unrolled: 1-line block ×5, first 2 shown]
	v_or3_b32 v186, v186, v188, v193
	v_or3_b32 v186, v186, v191, v192
	v_mov_b32_e32 v188, 0
	v_dot4c_i32_i8_e32 v188, v186, v21
	v_fma_mix_f32 v11, v187, v195, v11 op_sel_hi:[0,1,0]
	v_fma_f32 v187, v6, v190, -v7
	v_fma_mix_f32 v11, v187, v189, v11 op_sel_hi:[0,1,0]
	v_cvt_f32_i32_e32 v186, v188
	v_fma_f32 v186, v6, v186, -v7
	v_fma_mix_f32 v11, v186, v189, v11 op_sel_hi:[0,1,0]
	ds_bpermute_b32 v186, v175, v11
	s_waitcnt lgkmcnt(0)
	v_add_f32_e32 v11, v11, v186
	ds_bpermute_b32 v186, v176, v11
	s_waitcnt lgkmcnt(0)
	v_add_f32_e32 v11, v11, v186
	s_cbranch_vccnz .LBB14_17
; %bb.16:                               ;   in Loop: Header=BB14_11 Depth=1
	global_load_ushort v186, v[22:23], off offset:-2
	s_waitcnt vmcnt(0)
	v_fma_mix_f32 v11, v172, v186, v11 op_sel_hi:[0,1,0]
.LBB14_17:                              ;   in Loop: Header=BB14_11 Depth=1
	v_mov_b32_e32 v189, s37
	v_add_co_u32_e32 v186, vcc, s36, v26
	v_addc_co_u32_e32 v187, vcc, v27, v189, vcc
	v_add_co_u32_e32 v188, vcc, s36, v24
	v_addc_co_u32_e32 v189, vcc, v25, v189, vcc
	global_load_dword v190, v[186:187], off
	global_load_ushort v191, v[186:187], off offset:4
	global_load_dword v192, v[188:189], off offset:6
	global_load_dword v193, v[186:187], off offset:22
	global_load_ushort v194, v[186:187], off offset:26
	global_load_dword v195, v[188:189], off offset:28
	global_load_dword v196, v[186:187], off offset:44
	global_load_ushort v197, v[186:187], off offset:48
	global_load_dword v198, v[188:189], off offset:50
	s_nop 0
	global_load_dword v188, v[188:189], off offset:72
	s_nop 0
	;; [unrolled: 2-line block ×3, first 2 shown]
	global_load_ushort v186, v[186:187], off offset:70
	v_mov_b32_e32 v199, 0
	v_mov_b32_e32 v200, 0
	;; [unrolled: 1-line block ×4, first 2 shown]
	s_and_b64 vcc, exec, s[12:13]
	s_waitcnt vmcnt(10)
	v_perm_b32 v187, v190, v191, s18
	v_ashrrev_i32_e32 v205, v12, v187
	v_ashrrev_i32_e32 v187, v182, v187
	s_waitcnt vmcnt(7)
	v_perm_b32 v194, v193, v194, s18
	v_lshlrev_b32_e32 v208, 4, v205
	v_lshlrev_b32_e32 v209, 11, v205
	;; [unrolled: 1-line block ×4, first 2 shown]
	v_and_b32_e32 v191, 0xf0f0f0f, v192
	v_lshrrev_b32_e32 v192, 4, v192
	v_ashrrev_i32_e32 v206, v12, v194
	v_lshlrev_b32_e32 v211, 4, v187
	v_lshlrev_b32_e32 v212, 11, v187
	;; [unrolled: 1-line block ×4, first 2 shown]
	v_and_b32_e32 v210, 0x100000, v210
	v_and_b32_e32 v205, 0x10000000, v205
	;; [unrolled: 1-line block ×3, first 2 shown]
	v_lshlrev_b32_e32 v214, 4, v206
	v_lshlrev_b32_e32 v215, 11, v206
	;; [unrolled: 1-line block ×4, first 2 shown]
	v_and_b32_e32 v208, 16, v208
	v_and_b32_e32 v209, 0x1000, v209
	;; [unrolled: 1-line block ×4, first 2 shown]
	v_or3_b32 v191, v205, v191, v210
	s_waitcnt vmcnt(6)
	v_and_b32_e32 v203, 0xf0f0f0f, v195
	v_and_b32_e32 v211, 16, v211
	;; [unrolled: 1-line block ×5, first 2 shown]
	v_or3_b32 v187, v187, v192, v213
	v_or3_b32 v191, v191, v208, v209
	v_and_b32_e32 v214, 16, v214
	v_and_b32_e32 v215, 0x1000, v215
	v_or3_b32 v192, v206, v203, v216
	v_or3_b32 v187, v187, v211, v212
	v_dot4c_i32_i8_e32 v199, v191, v14
	v_or3_b32 v192, v192, v214, v215
	v_dot4c_i32_i8_e32 v200, v187, v15
	v_dot4c_i32_i8_e32 v201, v192, v16
	v_cvt_f32_i32_e32 v187, v199
	s_waitcnt vmcnt(4)
	v_perm_b32 v197, v196, v197, s18
	v_cvt_f32_i32_e32 v191, v200
	v_cvt_f32_i32_e32 v192, v201
	v_fma_f32 v187, v0, v187, -v1
	v_fma_mix_f32 v187, v187, v190, 0 op_sel_hi:[0,1,0]
	v_fma_f32 v191, v0, v191, -v1
	v_ashrrev_i32_e32 v207, v12, v197
	v_fma_f32 v192, v2, v192, -v3
	v_fma_mix_f32 v187, v191, v190, v187 op_sel_hi:[0,1,0]
	v_fma_mix_f32 v187, v192, v193, v187 op_sel_hi:[0,1,0]
	v_lshlrev_b32_e32 v191, 18, v207
	v_lshlrev_b32_e32 v192, 25, v207
	s_waitcnt vmcnt(3)
	v_and_b32_e32 v204, 0xf0f0f0f, v198
	v_lshlrev_b32_e32 v220, 4, v207
	v_lshlrev_b32_e32 v190, 11, v207
	v_and_b32_e32 v191, 0x100000, v191
	v_and_b32_e32 v192, 0x10000000, v192
	v_ashrrev_i32_e32 v194, v182, v194
	v_and_b32_e32 v220, 16, v220
	v_and_b32_e32 v190, 0x1000, v190
	v_or3_b32 v191, v192, v204, v191
	v_lshrrev_b32_e32 v195, 4, v195
	v_lshlrev_b32_e32 v217, 4, v194
	v_lshlrev_b32_e32 v218, 11, v194
	;; [unrolled: 1-line block ×4, first 2 shown]
	v_or3_b32 v190, v191, v220, v190
	v_mov_b32_e32 v191, 0
	v_and_b32_e32 v195, 0xf0f0f0f, v195
	v_and_b32_e32 v219, 0x100000, v219
	;; [unrolled: 1-line block ×3, first 2 shown]
	v_dot4c_i32_i8_e32 v191, v190, v18
	v_ashrrev_i32_e32 v192, v182, v197
	v_and_b32_e32 v217, 16, v217
	v_and_b32_e32 v218, 0x1000, v218
	v_or3_b32 v194, v194, v195, v219
	v_cvt_f32_i32_e32 v190, v191
	v_lshrrev_b32_e32 v191, 4, v198
	v_lshlrev_b32_e32 v195, 4, v192
	v_lshlrev_b32_e32 v197, 11, v192
	;; [unrolled: 1-line block ×4, first 2 shown]
	v_or3_b32 v194, v194, v217, v218
	v_and_b32_e32 v191, 0xf0f0f0f, v191
	v_and_b32_e32 v198, 0x100000, v198
	;; [unrolled: 1-line block ×3, first 2 shown]
	v_dot4c_i32_i8_e32 v202, v194, v17
	v_and_b32_e32 v195, 16, v195
	v_and_b32_e32 v197, 0x1000, v197
	v_or3_b32 v191, v192, v191, v198
	v_cvt_f32_i32_e32 v194, v202
	v_or3_b32 v191, v191, v195, v197
	v_mov_b32_e32 v192, 0
	v_dot4c_i32_i8_e32 v192, v191, v19
	v_fma_f32 v194, v2, v194, -v3
	v_fma_mix_f32 v187, v194, v193, v187 op_sel_hi:[0,1,0]
	v_fma_f32 v190, v4, v190, -v5
	v_cvt_f32_i32_e32 v191, v192
	s_waitcnt vmcnt(0)
	v_perm_b32 v186, v189, v186, s18
	v_fma_mix_f32 v187, v190, v196, v187 op_sel_hi:[0,1,0]
	v_and_b32_e32 v193, 0xf0f0f0f, v188
	v_fma_f32 v190, v4, v191, -v5
	v_ashrrev_i32_e32 v191, v12, v186
	v_lshlrev_b32_e32 v192, 4, v191
	v_lshlrev_b32_e32 v194, 11, v191
	;; [unrolled: 1-line block ×4, first 2 shown]
	v_and_b32_e32 v195, 0x100000, v195
	v_and_b32_e32 v191, 0x10000000, v191
	;; [unrolled: 1-line block ×4, first 2 shown]
	v_or3_b32 v191, v191, v193, v195
	v_or3_b32 v191, v191, v192, v194
	v_mov_b32_e32 v192, 0
	v_dot4c_i32_i8_e32 v192, v191, v20
	v_ashrrev_i32_e32 v186, v182, v186
	v_lshrrev_b32_e32 v188, 4, v188
	v_lshlrev_b32_e32 v193, 11, v186
	v_cvt_f32_i32_e32 v191, v192
	v_lshlrev_b32_e32 v192, 4, v186
	v_lshlrev_b32_e32 v194, 18, v186
	;; [unrolled: 1-line block ×3, first 2 shown]
	v_and_b32_e32 v188, 0xf0f0f0f, v188
	v_and_b32_e32 v194, 0x100000, v194
	v_and_b32_e32 v186, 0x10000000, v186
	v_and_b32_e32 v192, 16, v192
	v_and_b32_e32 v193, 0x1000, v193
	v_or3_b32 v186, v186, v188, v194
	v_or3_b32 v186, v186, v192, v193
	v_mov_b32_e32 v188, 0
	v_dot4c_i32_i8_e32 v188, v186, v21
	v_fma_mix_f32 v187, v190, v196, v187 op_sel_hi:[0,1,0]
	s_nop 1
	v_cvt_f32_i32_e32 v186, v188
	v_fma_f32 v188, v6, v191, -v7
	v_fma_mix_f32 v187, v188, v189, v187 op_sel_hi:[0,1,0]
	v_fma_f32 v186, v6, v186, -v7
	v_fma_mix_f32 v186, v186, v189, v187 op_sel_hi:[0,1,0]
	ds_bpermute_b32 v187, v175, v186
	s_waitcnt lgkmcnt(0)
	v_add_f32_e32 v186, v186, v187
	ds_bpermute_b32 v187, v176, v186
	s_waitcnt lgkmcnt(0)
	v_add_f32_e32 v188, v186, v187
	s_cbranch_vccnz .LBB14_19
; %bb.18:                               ;   in Loop: Header=BB14_11 Depth=1
	global_load_ushort v186, v[22:23], off
	s_waitcnt vmcnt(0)
	v_fma_mix_f32 v188, v172, v186, v188 op_sel_hi:[0,1,0]
.LBB14_19:                              ;   in Loop: Header=BB14_11 Depth=1
	v_add_f32_e32 v186, 0x40051340, v9
	v_add_f32_e32 v187, 0x40051340, v10
	v_max3_f32 v186, v8, v186, v187
	v_add_f32_e32 v187, 0x40051340, v11
	v_add_f32_e32 v189, 0x40051340, v188
	v_cndmask_b32_e64 v9, v184, v9, s[14:15]
	v_max3_f32 v186, v186, v187, v189
	v_cndmask_b32_e64 v9, v9, v10, s[8:9]
	v_mov_b32_e32 v187, s43
	v_add_co_u32_e32 v10, vcc, s17, v30
	v_cndmask_b32_e64 v9, v9, v11, s[10:11]
	v_addc_co_u32_e32 v11, vcc, v31, v187, vcc
	global_load_dword v189, v[10:11], off offset:2
	v_add_co_u32_e32 v10, vcc, s17, v28
	v_addc_co_u32_e32 v11, vcc, v29, v187, vcc
	global_load_ushort v10, v[10:11], off
	ds_bpermute_b32 v11, v177, v186
	v_cndmask_b32_e64 v9, v9, v188, s[2:3]
	s_add_i32 s16, s16, s44
	s_cmp_ge_i32 s16, s42
	s_waitcnt lgkmcnt(0)
	v_max_f32_e32 v11, v11, v11
	v_max_f32_e32 v11, v186, v11
	ds_bpermute_b32 v184, v178, v11
	s_waitcnt lgkmcnt(0)
	v_max_f32_e32 v184, v184, v184
	v_max_f32_e32 v11, v11, v184
	ds_bpermute_b32 v184, v179, v11
	s_waitcnt lgkmcnt(0)
	v_max_f32_e32 v184, v184, v184
	v_max_f32_e32 v186, v11, v184
	v_sub_f32_e32 v11, v8, v186
	v_mul_f32_e32 v8, 0x3fb8aa3b, v11
	v_fma_f32 v184, v11, s19, -v8
	v_rndne_f32_e32 v188, v8
	v_fmac_f32_e32 v184, 0x32a5705f, v11
	v_sub_f32_e32 v8, v8, v188
	v_sub_f32_e32 v190, v9, v186
	v_add_f32_e32 v184, v8, v184
	v_mul_f32_e32 v8, 0x3fb8aa3b, v190
	v_fma_f32 v9, v190, s19, -v8
	v_rndne_f32_e32 v191, v8
	v_fmac_f32_e32 v9, 0x32a5705f, v190
	v_sub_f32_e32 v8, v8, v191
	v_add_f32_e32 v192, v8, v9
	v_add_co_u32_e32 v8, vcc, s17, v34
	v_addc_co_u32_e32 v9, vcc, v35, v187, vcc
	global_load_dword v194, v[8:9], off offset:2
	v_add_co_u32_e32 v8, vcc, s17, v32
	v_addc_co_u32_e32 v9, vcc, v33, v187, vcc
	global_load_ushort v195, v[8:9], off
	v_add_co_u32_e32 v8, vcc, s17, v42
	v_addc_co_u32_e32 v9, vcc, v43, v187, vcc
	global_load_dword v196, v[8:9], off offset:2
	v_add_co_u32_e32 v8, vcc, s17, v40
	v_addc_co_u32_e32 v9, vcc, v41, v187, vcc
	global_load_ushort v197, v[8:9], off
	v_cvt_i32_f32_e32 v8, v188
	v_exp_f32_e32 v9, v184
	v_cmp_ngt_f32_e32 vcc, s20, v190
	v_ldexp_f32 v188, v9, v8
	v_cvt_i32_f32_e32 v8, v191
	v_exp_f32_e32 v9, v192
	v_ldexp_f32 v8, v9, v8
	v_cndmask_b32_e32 v8, 0, v8, vcc
	v_cmp_nlt_f32_e32 vcc, s21, v190
	v_cndmask_b32_e32 v184, v183, v8, vcc
	v_cvt_f16_f32_e32 v8, v184
	ds_write_b16 v173, v8
	s_waitcnt vmcnt(5)
	v_cvt_f16_i16_sdwa v8, sext(v189) dst_sel:DWORD dst_unused:UNUSED_PAD src0_sel:BYTE_0
	v_cvt_f16_i16_sdwa v9, sext(v189) dst_sel:DWORD dst_unused:UNUSED_PAD src0_sel:BYTE_1
	v_pack_b32_f16 v8, v8, v9
	v_lshrrev_b32_e32 v9, 16, v189
	v_cvt_f16_i16_sdwa v189, sext(v9) dst_sel:DWORD dst_unused:UNUSED_PAD src0_sel:BYTE_0
	v_cvt_f16_i16_sdwa v9, sext(v9) dst_sel:DWORD dst_unused:UNUSED_PAD src0_sel:BYTE_1
	v_pack_b32_f16 v9, v189, v9
	s_waitcnt vmcnt(4)
	v_pk_mul_f16 v189, v8, v10 op_sel_hi:[1,0]
	v_add_co_u32_e32 v8, vcc, s17, v46
	v_pk_mul_f16 v198, v10, v9 op_sel_hi:[0,1]
	v_addc_co_u32_e32 v9, vcc, v47, v187, vcc
	global_load_dword v199, v[8:9], off offset:2
	v_add_co_u32_e32 v8, vcc, s17, v44
	v_addc_co_u32_e32 v9, vcc, v45, v187, vcc
	global_load_ushort v200, v[8:9], off
	v_add_co_u32_e32 v8, vcc, s17, v50
	v_addc_co_u32_e32 v9, vcc, v51, v187, vcc
	global_load_dword v201, v[8:9], off offset:2
	v_add_co_u32_e32 v8, vcc, s17, v48
	v_addc_co_u32_e32 v9, vcc, v49, v187, vcc
	global_load_ushort v202, v[8:9], off
	v_add_co_u32_e32 v8, vcc, s17, v58
	;; [unrolled: 6-line block ×4, first 2 shown]
	v_addc_co_u32_e32 v9, vcc, v67, v187, vcc
	global_load_dword v207, v[8:9], off offset:2
	v_add_co_u32_e32 v8, vcc, s17, v64
	v_addc_co_u32_e32 v9, vcc, v65, v187, vcc
	global_load_ushort v208, v[8:9], off
	v_cmp_ngt_f32_e32 vcc, s20, v11
	v_cndmask_b32_e32 v8, 0, v188, vcc
	v_cmp_nlt_f32_e32 vcc, s21, v11
	v_cndmask_b32_e32 v188, v183, v8, vcc
	ds_read_b128 v[190:193], v180
	ds_read_b128 v[8:11], v180 offset:16
	v_cvt_f16_f32_e32 v209, v188
	v_fma_f32 v181, v181, v188, v184
	s_waitcnt lgkmcnt(1)
	v_pk_mul_f16 v198, v190, v198 op_sel_hi:[0,1]
	v_pk_mul_f16 v189, v190, v189 op_sel_hi:[0,1]
	v_pk_fma_f16 v185, v209, v185, v198 op_sel_hi:[0,1,1]
	v_pk_fma_f16 v13, v209, v13, v189 op_sel_hi:[0,1,1]
	s_waitcnt vmcnt(13)
	v_cvt_f16_i16_sdwa v189, sext(v194) dst_sel:DWORD dst_unused:UNUSED_PAD src0_sel:BYTE_0
	v_cvt_f16_i16_sdwa v198, sext(v194) dst_sel:DWORD dst_unused:UNUSED_PAD src0_sel:BYTE_1
	v_lshrrev_b32_e32 v194, 16, v194
	v_pack_b32_f16 v189, v189, v198
	v_cvt_f16_i16_sdwa v198, sext(v194) dst_sel:DWORD dst_unused:UNUSED_PAD src0_sel:BYTE_0
	v_cvt_f16_i16_sdwa v194, sext(v194) dst_sel:DWORD dst_unused:UNUSED_PAD src0_sel:BYTE_1
	v_pack_b32_f16 v194, v198, v194
	s_waitcnt vmcnt(12)
	v_pk_mul_f16 v189, v189, v195 op_sel_hi:[1,0]
	v_pk_mul_f16 v194, v195, v194 op_sel_hi:[0,1]
	v_pk_fma_f16 v13, v190, v189, v13 op_sel:[1,0,0]
	v_pk_fma_f16 v185, v190, v194, v185 op_sel:[1,0,0]
	s_waitcnt vmcnt(11)
	v_cvt_f16_i16_sdwa v189, sext(v196) dst_sel:DWORD dst_unused:UNUSED_PAD src0_sel:BYTE_0
	v_cvt_f16_i16_sdwa v190, sext(v196) dst_sel:DWORD dst_unused:UNUSED_PAD src0_sel:BYTE_1
	v_pack_b32_f16 v189, v189, v190
	v_lshrrev_b32_e32 v190, 16, v196
	v_cvt_f16_i16_sdwa v194, sext(v190) dst_sel:DWORD dst_unused:UNUSED_PAD src0_sel:BYTE_0
	v_cvt_f16_i16_sdwa v190, sext(v190) dst_sel:DWORD dst_unused:UNUSED_PAD src0_sel:BYTE_1
	v_pack_b32_f16 v190, v194, v190
	s_waitcnt vmcnt(10)
	v_pk_mul_f16 v189, v189, v197 op_sel_hi:[1,0]
	v_pk_mul_f16 v190, v197, v190 op_sel_hi:[0,1]
	v_pk_fma_f16 v13, v191, v189, v13 op_sel_hi:[0,1,1]
	v_pk_fma_f16 v185, v191, v190, v185 op_sel_hi:[0,1,1]
	s_waitcnt vmcnt(9)
	v_cvt_f16_i16_sdwa v189, sext(v199) dst_sel:DWORD dst_unused:UNUSED_PAD src0_sel:BYTE_0
	v_cvt_f16_i16_sdwa v190, sext(v199) dst_sel:DWORD dst_unused:UNUSED_PAD src0_sel:BYTE_1
	v_pack_b32_f16 v189, v189, v190
	v_lshrrev_b32_e32 v190, 16, v199
	v_cvt_f16_i16_sdwa v194, sext(v190) dst_sel:DWORD dst_unused:UNUSED_PAD src0_sel:BYTE_0
	v_cvt_f16_i16_sdwa v190, sext(v190) dst_sel:DWORD dst_unused:UNUSED_PAD src0_sel:BYTE_1
	v_pack_b32_f16 v190, v194, v190
	s_waitcnt vmcnt(8)
	v_pk_mul_f16 v189, v189, v200 op_sel_hi:[1,0]
	v_pk_mul_f16 v190, v200, v190 op_sel_hi:[0,1]
	v_pk_fma_f16 v13, v191, v189, v13 op_sel:[1,0,0]
	v_pk_fma_f16 v185, v191, v190, v185 op_sel:[1,0,0]
	s_waitcnt vmcnt(7)
	v_cvt_f16_i16_sdwa v189, sext(v201) dst_sel:DWORD dst_unused:UNUSED_PAD src0_sel:BYTE_0
	v_cvt_f16_i16_sdwa v190, sext(v201) dst_sel:DWORD dst_unused:UNUSED_PAD src0_sel:BYTE_1
	v_pack_b32_f16 v189, v189, v190
	v_lshrrev_b32_e32 v190, 16, v201
	v_cvt_f16_i16_sdwa v191, sext(v190) dst_sel:DWORD dst_unused:UNUSED_PAD src0_sel:BYTE_0
	v_cvt_f16_i16_sdwa v190, sext(v190) dst_sel:DWORD dst_unused:UNUSED_PAD src0_sel:BYTE_1
	v_pack_b32_f16 v190, v191, v190
	s_waitcnt vmcnt(6)
	v_pk_mul_f16 v189, v189, v202 op_sel_hi:[1,0]
	v_pk_mul_f16 v190, v202, v190 op_sel_hi:[0,1]
	v_pk_fma_f16 v13, v192, v189, v13 op_sel_hi:[0,1,1]
	v_pk_fma_f16 v185, v192, v190, v185 op_sel_hi:[0,1,1]
	s_waitcnt vmcnt(5)
	v_cvt_f16_i16_sdwa v189, sext(v203) dst_sel:DWORD dst_unused:UNUSED_PAD src0_sel:BYTE_0
	v_cvt_f16_i16_sdwa v190, sext(v203) dst_sel:DWORD dst_unused:UNUSED_PAD src0_sel:BYTE_1
	v_pack_b32_f16 v189, v189, v190
	v_lshrrev_b32_e32 v190, 16, v203
	;; [unrolled: 26-line block ×3, first 2 shown]
	v_cvt_f16_i16_sdwa v191, sext(v190) dst_sel:DWORD dst_unused:UNUSED_PAD src0_sel:BYTE_0
	v_cvt_f16_i16_sdwa v190, sext(v190) dst_sel:DWORD dst_unused:UNUSED_PAD src0_sel:BYTE_1
	v_pack_b32_f16 v190, v191, v190
	s_waitcnt vmcnt(0)
	v_pk_mul_f16 v190, v208, v190 op_sel_hi:[0,1]
	v_pk_fma_f16 v185, v193, v190, v185 op_sel:[1,0,0]
	v_add_co_u32_e32 v190, vcc, s17, v70
	v_pk_mul_f16 v189, v189, v208 op_sel_hi:[1,0]
	v_addc_co_u32_e32 v191, vcc, v71, v187, vcc
	v_pk_fma_f16 v13, v193, v189, v13 op_sel:[1,0,0]
	global_load_dword v189, v[190:191], off offset:2
	v_add_co_u32_e32 v190, vcc, s17, v68
	v_addc_co_u32_e32 v191, vcc, v69, v187, vcc
	global_load_ushort v192, v[190:191], off
	v_add_co_u32_e32 v190, vcc, s17, v76
	v_addc_co_u32_e32 v191, vcc, v77, v187, vcc
	global_load_dword v193, v[190:191], off offset:2
	v_add_co_u32_e32 v190, vcc, s17, v74
	v_addc_co_u32_e32 v191, vcc, v75, v187, vcc
	global_load_ushort v194, v[190:191], off
	v_add_co_u32_e32 v190, vcc, s17, v82
	v_addc_co_u32_e32 v191, vcc, v83, v187, vcc
	;; [unrolled: 6-line block ×6, first 2 shown]
	global_load_dword v203, v[190:191], off offset:2
	s_waitcnt vmcnt(12)
	v_cvt_f16_i16_sdwa v190, sext(v189) dst_sel:DWORD dst_unused:UNUSED_PAD src0_sel:BYTE_0
	v_cvt_f16_i16_sdwa v191, sext(v189) dst_sel:DWORD dst_unused:UNUSED_PAD src0_sel:BYTE_1
	v_pack_b32_f16 v204, v190, v191
	v_add_co_u32_e32 v190, vcc, s17, v156
	v_addc_co_u32_e32 v191, vcc, v157, v187, vcc
	global_load_ushort v205, v[190:191], off
	v_add_co_u32_e32 v190, vcc, s17, v150
	v_addc_co_u32_e32 v191, vcc, v151, v187, vcc
	global_load_dword v206, v[190:191], off offset:2
	v_add_co_u32_e32 v190, vcc, s17, v152
	v_addc_co_u32_e32 v191, vcc, v153, v187, vcc
	global_load_ushort v190, v[190:191], off
	v_lshrrev_b32_e32 v189, 16, v189
	v_cvt_f16_i16_sdwa v191, sext(v189) dst_sel:DWORD dst_unused:UNUSED_PAD src0_sel:BYTE_0
	v_cvt_f16_i16_sdwa v189, sext(v189) dst_sel:DWORD dst_unused:UNUSED_PAD src0_sel:BYTE_1
	v_pack_b32_f16 v189, v191, v189
	s_waitcnt vmcnt(14)
	v_pk_mul_f16 v191, v204, v192 op_sel_hi:[1,0]
	v_pk_mul_f16 v189, v192, v189 op_sel_hi:[0,1]
	s_waitcnt lgkmcnt(0)
	v_pk_fma_f16 v13, v8, v191, v13 op_sel_hi:[0,1,1]
	v_pk_fma_f16 v185, v8, v189, v185 op_sel_hi:[0,1,1]
	s_waitcnt vmcnt(13)
	v_cvt_f16_i16_sdwa v189, sext(v193) dst_sel:DWORD dst_unused:UNUSED_PAD src0_sel:BYTE_0
	v_cvt_f16_i16_sdwa v191, sext(v193) dst_sel:DWORD dst_unused:UNUSED_PAD src0_sel:BYTE_1
	v_pack_b32_f16 v189, v189, v191
	v_lshrrev_b32_e32 v191, 16, v193
	v_cvt_f16_i16_sdwa v192, sext(v191) dst_sel:DWORD dst_unused:UNUSED_PAD src0_sel:BYTE_0
	v_cvt_f16_i16_sdwa v191, sext(v191) dst_sel:DWORD dst_unused:UNUSED_PAD src0_sel:BYTE_1
	v_pack_b32_f16 v191, v192, v191
	s_waitcnt vmcnt(12)
	v_pk_mul_f16 v189, v189, v194 op_sel_hi:[1,0]
	v_pk_mul_f16 v191, v194, v191 op_sel_hi:[0,1]
	v_pk_fma_f16 v13, v8, v189, v13 op_sel:[1,0,0]
	v_pk_fma_f16 v8, v8, v191, v185 op_sel:[1,0,0]
	s_waitcnt vmcnt(11)
	v_cvt_f16_i16_sdwa v185, sext(v195) dst_sel:DWORD dst_unused:UNUSED_PAD src0_sel:BYTE_0
	v_cvt_f16_i16_sdwa v189, sext(v195) dst_sel:DWORD dst_unused:UNUSED_PAD src0_sel:BYTE_1
	v_pack_b32_f16 v185, v185, v189
	v_lshrrev_b32_e32 v189, 16, v195
	v_cvt_f16_i16_sdwa v191, sext(v189) dst_sel:DWORD dst_unused:UNUSED_PAD src0_sel:BYTE_0
	v_cvt_f16_i16_sdwa v189, sext(v189) dst_sel:DWORD dst_unused:UNUSED_PAD src0_sel:BYTE_1
	v_pack_b32_f16 v189, v191, v189
	s_waitcnt vmcnt(10)
	v_pk_mul_f16 v185, v185, v196 op_sel_hi:[1,0]
	v_pk_mul_f16 v189, v196, v189 op_sel_hi:[0,1]
	v_pk_fma_f16 v13, v9, v185, v13 op_sel_hi:[0,1,1]
	v_pk_fma_f16 v8, v9, v189, v8 op_sel_hi:[0,1,1]
	s_waitcnt vmcnt(9)
	v_cvt_f16_i16_sdwa v185, sext(v197) dst_sel:DWORD dst_unused:UNUSED_PAD src0_sel:BYTE_0
	v_cvt_f16_i16_sdwa v189, sext(v197) dst_sel:DWORD dst_unused:UNUSED_PAD src0_sel:BYTE_1
	v_pack_b32_f16 v185, v185, v189
	v_lshrrev_b32_e32 v189, 16, v197
	v_cvt_f16_i16_sdwa v191, sext(v189) dst_sel:DWORD dst_unused:UNUSED_PAD src0_sel:BYTE_0
	v_cvt_f16_i16_sdwa v189, sext(v189) dst_sel:DWORD dst_unused:UNUSED_PAD src0_sel:BYTE_1
	v_pack_b32_f16 v189, v191, v189
	s_waitcnt vmcnt(8)
	v_pk_mul_f16 v185, v185, v198 op_sel_hi:[1,0]
	v_pk_mul_f16 v189, v198, v189 op_sel_hi:[0,1]
	v_pk_fma_f16 v13, v9, v185, v13 op_sel:[1,0,0]
	v_pk_fma_f16 v8, v9, v189, v8 op_sel:[1,0,0]
	s_waitcnt vmcnt(7)
	v_cvt_f16_i16_sdwa v9, sext(v199) dst_sel:DWORD dst_unused:UNUSED_PAD src0_sel:BYTE_0
	v_cvt_f16_i16_sdwa v185, sext(v199) dst_sel:DWORD dst_unused:UNUSED_PAD src0_sel:BYTE_1
	v_pack_b32_f16 v9, v9, v185
	v_lshrrev_b32_e32 v185, 16, v199
	v_cvt_f16_i16_sdwa v189, sext(v185) dst_sel:DWORD dst_unused:UNUSED_PAD src0_sel:BYTE_0
	v_cvt_f16_i16_sdwa v185, sext(v185) dst_sel:DWORD dst_unused:UNUSED_PAD src0_sel:BYTE_1
	v_pack_b32_f16 v185, v189, v185
	s_waitcnt vmcnt(6)
	v_pk_mul_f16 v9, v9, v200 op_sel_hi:[1,0]
	v_pk_mul_f16 v185, v200, v185 op_sel_hi:[0,1]
	;; [unrolled: 26-line block ×3, first 2 shown]
	v_pk_fma_f16 v9, v11, v10, v9 op_sel_hi:[0,1,1]
	v_pk_fma_f16 v8, v11, v13, v8 op_sel_hi:[0,1,1]
	s_waitcnt vmcnt(1)
	v_cvt_f16_i16_sdwa v10, sext(v206) dst_sel:DWORD dst_unused:UNUSED_PAD src0_sel:BYTE_0
	v_cvt_f16_i16_sdwa v13, sext(v206) dst_sel:DWORD dst_unused:UNUSED_PAD src0_sel:BYTE_1
	v_pack_b32_f16 v10, v10, v13
	v_lshrrev_b32_e32 v13, 16, v206
	v_cvt_f16_i16_sdwa v185, sext(v13) dst_sel:DWORD dst_unused:UNUSED_PAD src0_sel:BYTE_0
	v_cvt_f16_i16_sdwa v13, sext(v13) dst_sel:DWORD dst_unused:UNUSED_PAD src0_sel:BYTE_1
	v_pack_b32_f16 v13, v185, v13
	s_waitcnt vmcnt(0)
	v_pk_mul_f16 v13, v190, v13 op_sel_hi:[0,1]
	v_pk_mul_f16 v10, v10, v190 op_sel_hi:[1,0]
	v_pk_fma_f16 v13, v11, v13, v8 op_sel:[1,0,0]
	v_add_co_u32_e32 v8, vcc, s17, v146
	v_pk_fma_f16 v185, v11, v10, v9 op_sel:[1,0,0]
	v_addc_co_u32_e32 v9, vcc, v147, v187, vcc
	global_load_dword v10, v[8:9], off offset:2
	v_add_co_u32_e32 v8, vcc, s17, v148
	v_addc_co_u32_e32 v9, vcc, v149, v187, vcc
	global_load_ushort v11, v[8:9], off
	v_add_co_u32_e32 v8, vcc, s17, v142
	v_addc_co_u32_e32 v9, vcc, v143, v187, vcc
	global_load_dword v189, v[8:9], off offset:2
	s_waitcnt vmcnt(2)
	v_cvt_f16_i16_sdwa v8, sext(v10) dst_sel:DWORD dst_unused:UNUSED_PAD src0_sel:BYTE_0
	v_cvt_f16_i16_sdwa v9, sext(v10) dst_sel:DWORD dst_unused:UNUSED_PAD src0_sel:BYTE_1
	v_pack_b32_f16 v190, v8, v9
	v_add_co_u32_e32 v8, vcc, s17, v144
	v_addc_co_u32_e32 v9, vcc, v145, v187, vcc
	global_load_ushort v194, v[8:9], off
	v_add_co_u32_e32 v8, vcc, s17, v138
	v_addc_co_u32_e32 v9, vcc, v139, v187, vcc
	global_load_dword v195, v[8:9], off offset:2
	v_add_co_u32_e32 v8, vcc, s17, v140
	v_addc_co_u32_e32 v9, vcc, v141, v187, vcc
	global_load_ushort v196, v[8:9], off
	v_add_co_u32_e32 v8, vcc, s17, v134
	v_addc_co_u32_e32 v9, vcc, v135, v187, vcc
	global_load_dword v197, v[8:9], off offset:2
	;; [unrolled: 6-line block ×4, first 2 shown]
	v_lshrrev_b32_e32 v8, 16, v10
	v_cvt_f16_i16_sdwa v9, sext(v8) dst_sel:DWORD dst_unused:UNUSED_PAD src0_sel:BYTE_0
	v_cvt_f16_i16_sdwa v8, sext(v8) dst_sel:DWORD dst_unused:UNUSED_PAD src0_sel:BYTE_1
	v_pack_b32_f16 v10, v9, v8
	v_add_co_u32_e32 v8, vcc, s17, v128
	v_addc_co_u32_e32 v9, vcc, v129, v187, vcc
	global_load_ushort v202, v[8:9], off
	v_add_co_u32_e32 v8, vcc, s17, v122
	v_addc_co_u32_e32 v9, vcc, v123, v187, vcc
	global_load_dword v203, v[8:9], off offset:2
	v_add_co_u32_e32 v8, vcc, s17, v124
	v_addc_co_u32_e32 v9, vcc, v125, v187, vcc
	global_load_ushort v204, v[8:9], off
	v_add_co_u32_e32 v8, vcc, s17, v118
	v_addc_co_u32_e32 v9, vcc, v119, v187, vcc
	global_load_dword v205, v[8:9], off offset:2
	v_add_co_u32_e32 v8, vcc, s17, v120
	v_addc_co_u32_e32 v9, vcc, v121, v187, vcc
	global_load_ushort v208, v[8:9], off
	s_waitcnt vmcnt(14)
	v_pk_mul_f16 v206, v190, v11 op_sel_hi:[1,0]
	v_pk_mul_f16 v207, v11, v10 op_sel_hi:[0,1]
	ds_read_b128 v[190:193], v180 offset:32
	ds_read_b128 v[8:11], v180 offset:48
	s_waitcnt lgkmcnt(1)
	v_pk_fma_f16 v185, v190, v206, v185 op_sel_hi:[0,1,1]
	v_pk_fma_f16 v13, v190, v207, v13 op_sel_hi:[0,1,1]
	s_waitcnt vmcnt(13)
	v_cvt_f16_i16_sdwa v206, sext(v189) dst_sel:DWORD dst_unused:UNUSED_PAD src0_sel:BYTE_0
	v_cvt_f16_i16_sdwa v207, sext(v189) dst_sel:DWORD dst_unused:UNUSED_PAD src0_sel:BYTE_1
	v_lshrrev_b32_e32 v189, 16, v189
	v_pack_b32_f16 v206, v206, v207
	v_cvt_f16_i16_sdwa v207, sext(v189) dst_sel:DWORD dst_unused:UNUSED_PAD src0_sel:BYTE_0
	v_cvt_f16_i16_sdwa v189, sext(v189) dst_sel:DWORD dst_unused:UNUSED_PAD src0_sel:BYTE_1
	v_pack_b32_f16 v189, v207, v189
	s_waitcnt vmcnt(12)
	v_pk_mul_f16 v206, v206, v194 op_sel_hi:[1,0]
	v_pk_mul_f16 v189, v194, v189 op_sel_hi:[0,1]
	v_pk_fma_f16 v185, v190, v206, v185 op_sel:[1,0,0]
	v_pk_fma_f16 v13, v190, v189, v13 op_sel:[1,0,0]
	s_waitcnt vmcnt(11)
	v_cvt_f16_i16_sdwa v189, sext(v195) dst_sel:DWORD dst_unused:UNUSED_PAD src0_sel:BYTE_0
	v_cvt_f16_i16_sdwa v190, sext(v195) dst_sel:DWORD dst_unused:UNUSED_PAD src0_sel:BYTE_1
	v_pack_b32_f16 v189, v189, v190
	v_lshrrev_b32_e32 v190, 16, v195
	v_cvt_f16_i16_sdwa v194, sext(v190) dst_sel:DWORD dst_unused:UNUSED_PAD src0_sel:BYTE_0
	v_cvt_f16_i16_sdwa v190, sext(v190) dst_sel:DWORD dst_unused:UNUSED_PAD src0_sel:BYTE_1
	v_pack_b32_f16 v190, v194, v190
	s_waitcnt vmcnt(10)
	v_pk_mul_f16 v189, v189, v196 op_sel_hi:[1,0]
	v_pk_mul_f16 v190, v196, v190 op_sel_hi:[0,1]
	v_pk_fma_f16 v185, v191, v189, v185 op_sel_hi:[0,1,1]
	v_pk_fma_f16 v13, v191, v190, v13 op_sel_hi:[0,1,1]
	s_waitcnt vmcnt(9)
	v_cvt_f16_i16_sdwa v189, sext(v197) dst_sel:DWORD dst_unused:UNUSED_PAD src0_sel:BYTE_0
	v_cvt_f16_i16_sdwa v190, sext(v197) dst_sel:DWORD dst_unused:UNUSED_PAD src0_sel:BYTE_1
	v_pack_b32_f16 v189, v189, v190
	v_lshrrev_b32_e32 v190, 16, v197
	v_cvt_f16_i16_sdwa v194, sext(v190) dst_sel:DWORD dst_unused:UNUSED_PAD src0_sel:BYTE_0
	v_cvt_f16_i16_sdwa v190, sext(v190) dst_sel:DWORD dst_unused:UNUSED_PAD src0_sel:BYTE_1
	v_pack_b32_f16 v190, v194, v190
	s_waitcnt vmcnt(8)
	v_pk_mul_f16 v189, v189, v198 op_sel_hi:[1,0]
	v_pk_mul_f16 v190, v198, v190 op_sel_hi:[0,1]
	v_pk_fma_f16 v185, v191, v189, v185 op_sel:[1,0,0]
	v_pk_fma_f16 v13, v191, v190, v13 op_sel:[1,0,0]
	s_waitcnt vmcnt(7)
	v_cvt_f16_i16_sdwa v189, sext(v199) dst_sel:DWORD dst_unused:UNUSED_PAD src0_sel:BYTE_0
	v_cvt_f16_i16_sdwa v190, sext(v199) dst_sel:DWORD dst_unused:UNUSED_PAD src0_sel:BYTE_1
	v_pack_b32_f16 v189, v189, v190
	v_lshrrev_b32_e32 v190, 16, v199
	v_cvt_f16_i16_sdwa v191, sext(v190) dst_sel:DWORD dst_unused:UNUSED_PAD src0_sel:BYTE_0
	v_cvt_f16_i16_sdwa v190, sext(v190) dst_sel:DWORD dst_unused:UNUSED_PAD src0_sel:BYTE_1
	v_pack_b32_f16 v190, v191, v190
	s_waitcnt vmcnt(6)
	v_pk_mul_f16 v189, v189, v200 op_sel_hi:[1,0]
	v_pk_mul_f16 v190, v200, v190 op_sel_hi:[0,1]
	v_pk_fma_f16 v185, v192, v189, v185 op_sel_hi:[0,1,1]
	v_pk_fma_f16 v13, v192, v190, v13 op_sel_hi:[0,1,1]
	s_waitcnt vmcnt(5)
	v_cvt_f16_i16_sdwa v189, sext(v201) dst_sel:DWORD dst_unused:UNUSED_PAD src0_sel:BYTE_0
	v_cvt_f16_i16_sdwa v190, sext(v201) dst_sel:DWORD dst_unused:UNUSED_PAD src0_sel:BYTE_1
	v_pack_b32_f16 v189, v189, v190
	v_lshrrev_b32_e32 v190, 16, v201
	;; [unrolled: 26-line block ×3, first 2 shown]
	v_cvt_f16_i16_sdwa v191, sext(v190) dst_sel:DWORD dst_unused:UNUSED_PAD src0_sel:BYTE_0
	v_cvt_f16_i16_sdwa v190, sext(v190) dst_sel:DWORD dst_unused:UNUSED_PAD src0_sel:BYTE_1
	v_pack_b32_f16 v190, v191, v190
	s_waitcnt vmcnt(0)
	v_pk_mul_f16 v189, v189, v208 op_sel_hi:[1,0]
	v_pk_mul_f16 v190, v208, v190 op_sel_hi:[0,1]
	v_pk_fma_f16 v185, v193, v189, v185 op_sel:[1,0,0]
	v_pk_fma_f16 v189, v193, v190, v13 op_sel:[1,0,0]
	v_add_co_u32_e32 v190, vcc, s17, v114
	v_addc_co_u32_e32 v191, vcc, v115, v187, vcc
	global_load_dword v192, v[190:191], off offset:2
	v_add_co_u32_e32 v190, vcc, s17, v116
	v_addc_co_u32_e32 v191, vcc, v117, v187, vcc
	global_load_ushort v193, v[190:191], off
	v_add_co_u32_e32 v190, vcc, s17, v110
	v_addc_co_u32_e32 v191, vcc, v111, v187, vcc
	global_load_dword v194, v[190:191], off offset:2
	v_add_co_u32_e32 v190, vcc, s17, v112
	v_addc_co_u32_e32 v191, vcc, v113, v187, vcc
	global_load_ushort v195, v[190:191], off
	;; [unrolled: 6-line block ×8, first 2 shown]
	v_add_co_u32_e32 v22, vcc, s22, v22
	s_waitcnt vmcnt(15)
	v_cvt_f16_i16_sdwa v13, sext(v192) dst_sel:DWORD dst_unused:UNUSED_PAD src0_sel:BYTE_0
	v_cvt_f16_i16_sdwa v190, sext(v192) dst_sel:DWORD dst_unused:UNUSED_PAD src0_sel:BYTE_1
	v_pack_b32_f16 v13, v13, v190
	s_waitcnt vmcnt(14)
	v_pk_mul_f16 v13, v13, v193 op_sel_hi:[1,0]
	s_waitcnt lgkmcnt(0)
	v_pk_fma_f16 v13, v8, v13, v185 op_sel_hi:[0,1,1]
	s_waitcnt vmcnt(13)
	v_cvt_f16_i16_sdwa v185, sext(v194) dst_sel:DWORD dst_unused:UNUSED_PAD src0_sel:BYTE_0
	v_cvt_f16_i16_sdwa v190, sext(v194) dst_sel:DWORD dst_unused:UNUSED_PAD src0_sel:BYTE_1
	v_pack_b32_f16 v185, v185, v190
	s_waitcnt vmcnt(12)
	v_pk_mul_f16 v185, v185, v195 op_sel_hi:[1,0]
	v_pk_fma_f16 v13, v8, v185, v13 op_sel:[1,0,0]
	s_waitcnt vmcnt(11)
	v_cvt_f16_i16_sdwa v185, sext(v196) dst_sel:DWORD dst_unused:UNUSED_PAD src0_sel:BYTE_0
	v_cvt_f16_i16_sdwa v190, sext(v196) dst_sel:DWORD dst_unused:UNUSED_PAD src0_sel:BYTE_1
	v_pack_b32_f16 v185, v185, v190
	s_waitcnt vmcnt(10)
	v_pk_mul_f16 v185, v185, v197 op_sel_hi:[1,0]
	v_pk_fma_f16 v13, v9, v185, v13 op_sel_hi:[0,1,1]
	s_waitcnt vmcnt(9)
	v_cvt_f16_i16_sdwa v185, sext(v198) dst_sel:DWORD dst_unused:UNUSED_PAD src0_sel:BYTE_0
	v_cvt_f16_i16_sdwa v190, sext(v198) dst_sel:DWORD dst_unused:UNUSED_PAD src0_sel:BYTE_1
	v_pack_b32_f16 v185, v185, v190
	s_waitcnt vmcnt(8)
	v_pk_mul_f16 v185, v185, v199 op_sel_hi:[1,0]
	v_pk_fma_f16 v13, v9, v185, v13 op_sel:[1,0,0]
	s_waitcnt vmcnt(7)
	v_cvt_f16_i16_sdwa v185, sext(v200) dst_sel:DWORD dst_unused:UNUSED_PAD src0_sel:BYTE_0
	v_cvt_f16_i16_sdwa v190, sext(v200) dst_sel:DWORD dst_unused:UNUSED_PAD src0_sel:BYTE_1
	v_pack_b32_f16 v185, v185, v190
	s_waitcnt vmcnt(6)
	v_pk_mul_f16 v185, v185, v201 op_sel_hi:[1,0]
	v_pk_fma_f16 v13, v10, v185, v13 op_sel_hi:[0,1,1]
	s_waitcnt vmcnt(5)
	v_cvt_f16_i16_sdwa v185, sext(v202) dst_sel:DWORD dst_unused:UNUSED_PAD src0_sel:BYTE_0
	v_cvt_f16_i16_sdwa v190, sext(v202) dst_sel:DWORD dst_unused:UNUSED_PAD src0_sel:BYTE_1
	v_pack_b32_f16 v185, v185, v190
	s_waitcnt vmcnt(4)
	v_pk_mul_f16 v185, v185, v203 op_sel_hi:[1,0]
	v_pk_fma_f16 v13, v10, v185, v13 op_sel:[1,0,0]
	s_waitcnt vmcnt(3)
	v_cvt_f16_i16_sdwa v185, sext(v204) dst_sel:DWORD dst_unused:UNUSED_PAD src0_sel:BYTE_0
	v_cvt_f16_i16_sdwa v190, sext(v204) dst_sel:DWORD dst_unused:UNUSED_PAD src0_sel:BYTE_1
	v_pack_b32_f16 v185, v185, v190
	s_waitcnt vmcnt(2)
	v_pk_mul_f16 v185, v185, v205 op_sel_hi:[1,0]
	v_pk_fma_f16 v13, v11, v185, v13 op_sel_hi:[0,1,1]
	s_waitcnt vmcnt(1)
	v_cvt_f16_i16_sdwa v185, sext(v206) dst_sel:DWORD dst_unused:UNUSED_PAD src0_sel:BYTE_0
	v_cvt_f16_i16_sdwa v190, sext(v206) dst_sel:DWORD dst_unused:UNUSED_PAD src0_sel:BYTE_1
	v_pack_b32_f16 v185, v185, v190
	s_waitcnt vmcnt(0)
	v_pk_mul_f16 v185, v185, v187 op_sel_hi:[1,0]
	v_pk_fma_f16 v13, v11, v185, v13 op_sel:[1,0,0]
	v_lshrrev_b32_e32 v185, 16, v192
	v_cvt_f16_i16_sdwa v190, sext(v185) dst_sel:DWORD dst_unused:UNUSED_PAD src0_sel:BYTE_0
	v_cvt_f16_i16_sdwa v185, sext(v185) dst_sel:DWORD dst_unused:UNUSED_PAD src0_sel:BYTE_1
	v_pack_b32_f16 v185, v190, v185
	v_pk_mul_f16 v185, v193, v185 op_sel_hi:[0,1]
	v_pk_fma_f16 v185, v8, v185, v189 op_sel_hi:[0,1,1]
	v_lshrrev_b32_e32 v189, 16, v194
	v_cvt_f16_i16_sdwa v190, sext(v189) dst_sel:DWORD dst_unused:UNUSED_PAD src0_sel:BYTE_0
	v_cvt_f16_i16_sdwa v189, sext(v189) dst_sel:DWORD dst_unused:UNUSED_PAD src0_sel:BYTE_1
	v_pack_b32_f16 v189, v190, v189
	v_pk_mul_f16 v189, v195, v189 op_sel_hi:[0,1]
	v_pk_fma_f16 v8, v8, v189, v185 op_sel:[1,0,0]
	v_lshrrev_b32_e32 v185, 16, v196
	v_cvt_f16_i16_sdwa v189, sext(v185) dst_sel:DWORD dst_unused:UNUSED_PAD src0_sel:BYTE_0
	v_cvt_f16_i16_sdwa v185, sext(v185) dst_sel:DWORD dst_unused:UNUSED_PAD src0_sel:BYTE_1
	v_pack_b32_f16 v185, v189, v185
	v_pk_mul_f16 v185, v197, v185 op_sel_hi:[0,1]
	v_pk_fma_f16 v8, v9, v185, v8 op_sel_hi:[0,1,1]
	v_lshrrev_b32_e32 v185, 16, v198
	v_cvt_f16_i16_sdwa v189, sext(v185) dst_sel:DWORD dst_unused:UNUSED_PAD src0_sel:BYTE_0
	v_cvt_f16_i16_sdwa v185, sext(v185) dst_sel:DWORD dst_unused:UNUSED_PAD src0_sel:BYTE_1
	v_pack_b32_f16 v185, v189, v185
	v_pk_mul_f16 v185, v199, v185 op_sel_hi:[0,1]
	v_pk_fma_f16 v8, v9, v185, v8 op_sel:[1,0,0]
	v_lshrrev_b32_e32 v9, 16, v200
	v_cvt_f16_i16_sdwa v185, sext(v9) dst_sel:DWORD dst_unused:UNUSED_PAD src0_sel:BYTE_0
	v_cvt_f16_i16_sdwa v9, sext(v9) dst_sel:DWORD dst_unused:UNUSED_PAD src0_sel:BYTE_1
	v_pack_b32_f16 v9, v185, v9
	v_pk_mul_f16 v9, v201, v9 op_sel_hi:[0,1]
	v_pk_fma_f16 v8, v10, v9, v8 op_sel_hi:[0,1,1]
	v_lshrrev_b32_e32 v9, 16, v202
	v_cvt_f16_i16_sdwa v185, sext(v9) dst_sel:DWORD dst_unused:UNUSED_PAD src0_sel:BYTE_0
	v_cvt_f16_i16_sdwa v9, sext(v9) dst_sel:DWORD dst_unused:UNUSED_PAD src0_sel:BYTE_1
	v_pack_b32_f16 v9, v185, v9
	v_pk_mul_f16 v9, v203, v9 op_sel_hi:[0,1]
	v_pk_fma_f16 v8, v10, v9, v8 op_sel:[1,0,0]
	v_lshrrev_b32_e32 v9, 16, v204
	v_cvt_f16_i16_sdwa v10, sext(v9) dst_sel:DWORD dst_unused:UNUSED_PAD src0_sel:BYTE_0
	v_cvt_f16_i16_sdwa v9, sext(v9) dst_sel:DWORD dst_unused:UNUSED_PAD src0_sel:BYTE_1
	v_pack_b32_f16 v9, v10, v9
	v_pk_mul_f16 v9, v205, v9 op_sel_hi:[0,1]
	v_pk_fma_f16 v8, v11, v9, v8 op_sel_hi:[0,1,1]
	v_lshrrev_b32_e32 v9, 16, v206
	v_cvt_f16_i16_sdwa v10, sext(v9) dst_sel:DWORD dst_unused:UNUSED_PAD src0_sel:BYTE_0
	v_cvt_f16_i16_sdwa v9, sext(v9) dst_sel:DWORD dst_unused:UNUSED_PAD src0_sel:BYTE_1
	v_pack_b32_f16 v9, v10, v9
	v_pk_mul_f16 v9, v187, v9 op_sel_hi:[0,1]
	v_pk_fma_f16 v185, v11, v9, v8 op_sel:[1,0,0]
	v_mov_b32_e32 v8, s23
	v_addc_co_u32_e32 v23, vcc, v23, v8, vcc
	v_mov_b32_e32 v8, s46
	v_add_co_u32_e32 v24, vcc, s39, v24
	v_addc_co_u32_e32 v25, vcc, v25, v8, vcc
	v_add_co_u32_e32 v26, vcc, s39, v26
	v_addc_co_u32_e32 v27, vcc, v27, v8, vcc
	;; [unrolled: 2-line block ×8, first 2 shown]
	v_mov_b32_e32 v8, s47
	v_add_co_u32_e32 v28, vcc, s38, v28
	v_addc_co_u32_e32 v29, vcc, v29, v8, vcc
	v_add_co_u32_e32 v30, vcc, s38, v30
	v_addc_co_u32_e32 v31, vcc, v31, v8, vcc
	;; [unrolled: 2-line block ×64, first 2 shown]
	s_cbranch_scc1 .LBB14_21
; %bb.20:                               ;   in Loop: Header=BB14_11 Depth=1
	v_mov_b32_e32 v8, v186
	s_branch .LBB14_11
.LBB14_21:
	s_cmp_lg_u64 s[24:25], 0
	v_or_b32_e32 v0, s7, v168
	s_cselect_b64 s[2:3], -1, 0
	v_cmp_eq_u32_e32 vcc, 0, v0
	s_and_b64 s[8:9], vcc, s[2:3]
	s_and_saveexec_b64 s[2:3], s[8:9]
	s_cbranch_execz .LBB14_23
; %bb.22:
	s_lshl_b64 s[8:9], s[40:41], 2
	s_add_u32 s8, s24, s8
	s_addc_u32 s9, s25, s9
	s_load_dword s8, s[8:9], 0x0
	v_max_f32_e32 v0, v186, v186
	s_mov_b32 s9, 0x3fb8aa3b
	s_mov_b32 s10, 0xc2ce8ed0
	;; [unrolled: 1-line block ×3, first 2 shown]
	s_waitcnt lgkmcnt(0)
	v_max_f32_e64 v1, s8, s8
	v_max_f32_e32 v0, v1, v0
	v_sub_f32_e32 v1, v186, v0
	v_mul_f32_e32 v2, 0x3fb8aa3b, v1
	v_fma_f32 v3, v1, s9, -v2
	v_rndne_f32_e32 v4, v2
	v_fmac_f32_e32 v3, 0x32a5705f, v1
	v_sub_f32_e32 v2, v2, v4
	v_add_f32_e32 v2, v2, v3
	v_cvt_i32_f32_e32 v3, v4
	v_exp_f32_e32 v2, v2
	v_cmp_ngt_f32_e32 vcc, s10, v1
	v_mov_b32_e32 v186, v0
	v_ldexp_f32 v2, v2, v3
	v_sub_f32_e32 v3, s8, v0
	v_mul_f32_e32 v4, 0x3fb8aa3b, v3
	v_fma_f32 v5, v3, s9, -v4
	v_rndne_f32_e32 v6, v4
	v_fmac_f32_e32 v5, 0x32a5705f, v3
	v_sub_f32_e32 v4, v4, v6
	v_add_f32_e32 v4, v4, v5
	v_exp_f32_e32 v4, v4
	v_cvt_i32_f32_e32 v5, v6
	v_cndmask_b32_e32 v2, 0, v2, vcc
	v_mov_b32_e32 v6, 0x7f800000
	v_cmp_nlt_f32_e32 vcc, s11, v1
	v_cndmask_b32_e32 v1, v6, v2, vcc
	v_ldexp_f32 v2, v4, v5
	v_cmp_ngt_f32_e32 vcc, s10, v3
	v_cndmask_b32_e32 v2, 0, v2, vcc
	v_cvt_f16_f32_e32 v4, v1
	v_cmp_nlt_f32_e32 vcc, s11, v3
	v_cndmask_b32_e32 v2, v6, v2, vcc
	v_cmp_eq_u32_e32 vcc, 0, v169
	v_cndmask_b32_e32 v2, 0, v2, vcc
	v_fmac_f32_e32 v2, v181, v1
	v_pk_mul_f16 v13, v4, v13 op_sel_hi:[0,1]
	v_pk_mul_f16 v185, v4, v185 op_sel_hi:[0,1]
	v_mov_b32_e32 v181, v2
.LBB14_23:
	s_or_b64 exec, exec, s[2:3]
	s_and_saveexec_b64 s[2:3], s[0:1]
	s_cbranch_execz .LBB14_25
; %bb.24:
	v_mov_b32_e32 v0, 0xfeffffff
	v_mov_b32_e32 v1, 0
	v_add_u32_e32 v2, 0x400, v174
	ds_write2_b32 v2, v0, v1 offset1:32
.LBB14_25:
	s_or_b64 exec, exec, s[2:3]
	v_cmp_eq_u32_e32 vcc, 0, v169
	v_lshlrev_b32_e32 v1, 2, v168
	s_waitcnt lgkmcnt(0)
	s_barrier
	s_and_saveexec_b64 s[0:1], vcc
	s_cbranch_execz .LBB14_27
; %bb.26:
	ds_write_b32 v1, v186 offset:1024
.LBB14_27:
	s_or_b64 exec, exec, s[0:1]
	v_mbcnt_hi_u32_b32 v4, -1, v170
	s_waitcnt lgkmcnt(0)
	s_barrier
	ds_read_b32 v0, v174 offset:1024
	v_and_b32_e32 v2, 0x60, v4
	v_add_u32_e32 v7, 32, v2
	v_xor_b32_e32 v2, 16, v4
	v_cmp_lt_i32_e64 s[0:1], v2, v7
	v_cndmask_b32_e64 v2, v4, v2, s[0:1]
	v_lshlrev_b32_e32 v2, 2, v2
	s_waitcnt lgkmcnt(0)
	ds_bpermute_b32 v3, v2, v0
	v_max_f32_e32 v0, v0, v0
	s_waitcnt lgkmcnt(0)
	v_max_f32_e32 v3, v3, v3
	v_max_f32_e32 v0, v0, v3
	v_xor_b32_e32 v3, 8, v4
	v_cmp_lt_i32_e64 s[0:1], v3, v7
	v_cndmask_b32_e64 v3, v4, v3, s[0:1]
	v_lshlrev_b32_e32 v3, 2, v3
	ds_bpermute_b32 v5, v3, v0
	s_waitcnt lgkmcnt(0)
	v_max_f32_e32 v5, v5, v5
	v_max_f32_e32 v0, v0, v5
	v_xor_b32_e32 v5, 4, v4
	v_cmp_lt_i32_e64 s[0:1], v5, v7
	v_cndmask_b32_e64 v5, v4, v5, s[0:1]
	v_lshlrev_b32_e32 v5, 2, v5
	ds_bpermute_b32 v6, v5, v0
	;; [unrolled: 8-line block ×4, first 2 shown]
	s_mov_b32 s0, 0x3fb8aa3b
	s_waitcnt lgkmcnt(0)
	v_max_f32_e32 v7, v7, v7
	v_max_f32_e32 v0, v0, v7
	v_sub_f32_e32 v7, v186, v0
	v_mul_f32_e32 v8, 0x3fb8aa3b, v7
	v_fma_f32 v9, v7, s0, -v8
	v_rndne_f32_e32 v10, v8
	v_fmac_f32_e32 v9, 0x32a5705f, v7
	v_sub_f32_e32 v8, v8, v10
	v_add_f32_e32 v8, v8, v9
	v_exp_f32_e32 v8, v8
	v_cvt_i32_f32_e32 v9, v10
	s_mov_b32 s0, 0xc2ce8ed0
	v_cmp_ngt_f32_e64 s[0:1], s0, v7
	v_ldexp_f32 v8, v8, v9
	v_cndmask_b32_e64 v8, 0, v8, s[0:1]
	s_mov_b32 s0, 0x42b17218
	v_mov_b32_e32 v9, 0x7f800000
	v_cmp_nlt_f32_e64 s[0:1], s0, v7
	v_cndmask_b32_e64 v7, v9, v8, s[0:1]
	v_mul_f32_e32 v8, v181, v7
	ds_bpermute_b32 v8, v2, v8
	v_cvt_f16_f32_e32 v11, v7
	s_waitcnt lgkmcnt(0)
	v_fmac_f32_e32 v8, v181, v7
	ds_bpermute_b32 v9, v3, v8
	v_pk_mul_f16 v10, v11, v13 op_sel_hi:[0,1]
	v_pk_mul_f16 v11, v11, v185 op_sel_hi:[0,1]
	s_waitcnt lgkmcnt(0)
	v_add_f32_e32 v8, v8, v9
	ds_bpermute_b32 v9, v5, v8
	s_waitcnt lgkmcnt(0)
	v_add_f32_e32 v7, v8, v9
	ds_bpermute_b32 v8, v6, v7
	v_lshlrev_b32_e32 v9, 3, v169
	v_lshl_add_u32 v9, v168, 8, v9
	ds_write_b64 v9, v[10:11]
	s_waitcnt lgkmcnt(1)
	v_add_f32_e32 v7, v7, v8
	ds_bpermute_b32 v8, v4, v7
	s_and_saveexec_b64 s[0:1], vcc
	s_cbranch_execz .LBB14_29
; %bb.28:
	s_waitcnt lgkmcnt(0)
	v_add_f32_e32 v7, v7, v8
	ds_write_b32 v1, v7 offset:1152
.LBB14_29:
	s_or_b64 exec, exec, s[0:1]
	s_waitcnt lgkmcnt(0)
	s_barrier
	ds_read_b32 v1, v174 offset:1152
	ds_read_u16 v12, v173 offset:768
	ds_read_u16 v7, v173
	ds_read_u16 v10, v173 offset:256
	ds_read_u16 v13, v173 offset:512
	s_load_dword s2, s[4:5], 0xd4
	s_mul_i32 s3, s33, s34
	s_waitcnt lgkmcnt(0)
	ds_bpermute_b32 v2, v2, v1
	v_cvt_f32_f16_e32 v8, v7
	v_cvt_f32_f16_e32 v10, v10
	s_cmp_eq_u32 s2, 1
	s_waitcnt lgkmcnt(0)
	v_add_f32_e32 v9, v1, v2
	ds_bpermute_b32 v3, v3, v9
	v_mov_b32_e32 v2, 0
	v_mov_b32_e32 v1, s29
	s_waitcnt lgkmcnt(0)
	v_pk_add_f32 v[8:9], v[8:9], v[2:3]
	ds_bpermute_b32 v11, v5, v9
	s_waitcnt lgkmcnt(0)
	v_pk_add_f32 v[8:9], v[8:9], v[10:11]
	ds_bpermute_b32 v7, v6, v9
	v_cvt_f32_f16_e32 v6, v13
	s_waitcnt lgkmcnt(0)
	v_pk_add_f32 v[6:7], v[8:9], v[6:7]
	ds_bpermute_b32 v5, v4, v7
	v_cvt_f32_f16_e32 v4, v12
	v_mov_b32_e32 v9, v2
	s_waitcnt lgkmcnt(0)
	v_pk_add_f32 v[4:5], v[6:7], v[4:5]
	v_div_scale_f32 v3, s[0:1], v5, v5, v4
	v_rcp_f32_e32 v6, v3
	v_div_scale_f32 v7, vcc, v4, v5, v4
	v_fma_f32 v8, -v3, v6, 1.0
	v_fmac_f32_e32 v6, v8, v6
	v_mul_f32_e32 v8, v7, v6
	v_fma_f32 v10, -v3, v8, v7
	v_fmac_f32_e32 v8, v10, v6
	v_fma_f32 v3, -v3, v8, v7
	v_div_fmas_f32 v3, v3, v6, v8
	s_cselect_b64 vcc, -1, 0
	s_add_i32 s0, s3, s6
	s_mul_i32 s0, s0, s35
	s_add_i32 s0, s0, s40
	s_mul_i32 s0, s2, s0
	s_add_i32 s0, s0, s7
	v_lshl_or_b32 v8, s0, 7, v171
	v_div_fixup_f32 v3, v3, v5, v4
	v_lshlrev_b64 v[6:7], 2, v[8:9]
	v_cndmask_b32_e32 v3, v4, v3, vcc
	v_add_co_u32_e32 v6, vcc, s28, v6
	v_addc_co_u32_e32 v7, vcc, v1, v7, vcc
	s_cmp_lg_u32 s2, 1
	s_cselect_b64 s[2:3], -1, 0
	v_cmp_eq_u32_e32 vcc, 0, v171
	s_and_b64 s[2:3], vcc, s[2:3]
	global_store_dword v[6:7], v3, off
	s_and_saveexec_b64 s[4:5], s[2:3]
	s_cbranch_execz .LBB14_31
; %bb.30:
	s_mov_b32 s1, 0
	s_lshl_b64 s[0:1], s[0:1], 3
	s_add_u32 s0, s30, s0
	s_addc_u32 s1, s31, s1
	v_mov_b32_e32 v1, v5
	global_store_dwordx2 v2, v[0:1], s[0:1]
.LBB14_31:
	s_endpgm
	.section	.rodata,"a",@progbits
	.p2align	6, 0x0
	.amdhsa_kernel _ZL18flash_attn_ext_vecILi128ELi1EL9ggml_type6ELS0_8ELb0EEvPKcS2_S2_S2_S2_PKiPfP15HIP_vector_typeIfLj2EEffffjfiS6_IjLj3EEiiiiiiiiiiiliiliiiiil
		.amdhsa_group_segment_fixed_size 1280
		.amdhsa_private_segment_fixed_size 0
		.amdhsa_kernarg_size 464
		.amdhsa_user_sgpr_count 6
		.amdhsa_user_sgpr_private_segment_buffer 1
		.amdhsa_user_sgpr_dispatch_ptr 0
		.amdhsa_user_sgpr_queue_ptr 0
		.amdhsa_user_sgpr_kernarg_segment_ptr 1
		.amdhsa_user_sgpr_dispatch_id 0
		.amdhsa_user_sgpr_flat_scratch_init 0
		.amdhsa_user_sgpr_kernarg_preload_length 0
		.amdhsa_user_sgpr_kernarg_preload_offset 0
		.amdhsa_user_sgpr_private_segment_size 0
		.amdhsa_uses_dynamic_stack 0
		.amdhsa_system_sgpr_private_segment_wavefront_offset 0
		.amdhsa_system_sgpr_workgroup_id_x 1
		.amdhsa_system_sgpr_workgroup_id_y 1
		.amdhsa_system_sgpr_workgroup_id_z 1
		.amdhsa_system_sgpr_workgroup_info 0
		.amdhsa_system_vgpr_workitem_id 1
		.amdhsa_next_free_vgpr 221
		.amdhsa_next_free_sgpr 62
		.amdhsa_accum_offset 224
		.amdhsa_reserve_vcc 1
		.amdhsa_reserve_flat_scratch 0
		.amdhsa_float_round_mode_32 0
		.amdhsa_float_round_mode_16_64 0
		.amdhsa_float_denorm_mode_32 3
		.amdhsa_float_denorm_mode_16_64 3
		.amdhsa_dx10_clamp 1
		.amdhsa_ieee_mode 1
		.amdhsa_fp16_overflow 0
		.amdhsa_tg_split 0
		.amdhsa_exception_fp_ieee_invalid_op 0
		.amdhsa_exception_fp_denorm_src 0
		.amdhsa_exception_fp_ieee_div_zero 0
		.amdhsa_exception_fp_ieee_overflow 0
		.amdhsa_exception_fp_ieee_underflow 0
		.amdhsa_exception_fp_ieee_inexact 0
		.amdhsa_exception_int_div_zero 0
	.end_amdhsa_kernel
	.section	.text._ZL18flash_attn_ext_vecILi128ELi1EL9ggml_type6ELS0_8ELb0EEvPKcS2_S2_S2_S2_PKiPfP15HIP_vector_typeIfLj2EEffffjfiS6_IjLj3EEiiiiiiiiiiiliiliiiiil,"axG",@progbits,_ZL18flash_attn_ext_vecILi128ELi1EL9ggml_type6ELS0_8ELb0EEvPKcS2_S2_S2_S2_PKiPfP15HIP_vector_typeIfLj2EEffffjfiS6_IjLj3EEiiiiiiiiiiiliiliiiiil,comdat
.Lfunc_end14:
	.size	_ZL18flash_attn_ext_vecILi128ELi1EL9ggml_type6ELS0_8ELb0EEvPKcS2_S2_S2_S2_PKiPfP15HIP_vector_typeIfLj2EEffffjfiS6_IjLj3EEiiiiiiiiiiiliiliiiiil, .Lfunc_end14-_ZL18flash_attn_ext_vecILi128ELi1EL9ggml_type6ELS0_8ELb0EEvPKcS2_S2_S2_S2_PKiPfP15HIP_vector_typeIfLj2EEffffjfiS6_IjLj3EEiiiiiiiiiiiliiliiiiil
                                        ; -- End function
	.section	.AMDGPU.csdata,"",@progbits
; Kernel info:
; codeLenInByte = 15412
; NumSgprs: 66
; NumVgprs: 221
; NumAgprs: 0
; TotalNumVgprs: 221
; ScratchSize: 0
; MemoryBound: 0
; FloatMode: 240
; IeeeMode: 1
; LDSByteSize: 1280 bytes/workgroup (compile time only)
; SGPRBlocks: 8
; VGPRBlocks: 27
; NumSGPRsForWavesPerEU: 66
; NumVGPRsForWavesPerEU: 221
; AccumOffset: 224
; Occupancy: 2
; WaveLimiterHint : 0
; COMPUTE_PGM_RSRC2:SCRATCH_EN: 0
; COMPUTE_PGM_RSRC2:USER_SGPR: 6
; COMPUTE_PGM_RSRC2:TRAP_HANDLER: 0
; COMPUTE_PGM_RSRC2:TGID_X_EN: 1
; COMPUTE_PGM_RSRC2:TGID_Y_EN: 1
; COMPUTE_PGM_RSRC2:TGID_Z_EN: 1
; COMPUTE_PGM_RSRC2:TIDIG_COMP_CNT: 1
; COMPUTE_PGM_RSRC3_GFX90A:ACCUM_OFFSET: 55
; COMPUTE_PGM_RSRC3_GFX90A:TG_SPLIT: 0
	.section	.text._ZL33flash_attn_stream_k_fixup_uniformILi128ELi1ELi1EEvPfPK15HIP_vector_typeIfLj2EEiiiiiiS1_IjLj3EES5_S5_,"axG",@progbits,_ZL33flash_attn_stream_k_fixup_uniformILi128ELi1ELi1EEvPfPK15HIP_vector_typeIfLj2EEiiiiiiS1_IjLj3EES5_S5_,comdat
	.globl	_ZL33flash_attn_stream_k_fixup_uniformILi128ELi1ELi1EEvPfPK15HIP_vector_typeIfLj2EEiiiiiiS1_IjLj3EES5_S5_ ; -- Begin function _ZL33flash_attn_stream_k_fixup_uniformILi128ELi1ELi1EEvPfPK15HIP_vector_typeIfLj2EEiiiiiiS1_IjLj3EES5_S5_
	.p2align	8
	.type	_ZL33flash_attn_stream_k_fixup_uniformILi128ELi1ELi1EEvPfPK15HIP_vector_typeIfLj2EEiiiiiiS1_IjLj3EES5_S5_,@function
_ZL33flash_attn_stream_k_fixup_uniformILi128ELi1ELi1EEvPfPK15HIP_vector_typeIfLj2EEiiiiiiS1_IjLj3EES5_S5_: ; @_ZL33flash_attn_stream_k_fixup_uniformILi128ELi1ELi1EEvPfPK15HIP_vector_typeIfLj2EEiiiiiiS1_IjLj3EES5_S5_
; %bb.0:
	s_load_dwordx8 s[12:19], s[4:5], 0x1c
	s_load_dwordx2 s[10:11], s[4:5], 0x10
	s_load_dwordx4 s[0:3], s[4:5], 0x3c
	s_waitcnt lgkmcnt(0)
	s_mul_hi_u32 s9, s15, s6
	s_add_i32 s9, s6, s9
	s_lshr_b32 s9, s9, s16
	s_mul_i32 s15, s9, s17
	s_sub_i32 s16, s6, s15
	s_mul_hi_u32 s15, s16, s18
	s_add_i32 s15, s16, s15
	s_lshr_b32 s15, s15, s19
	s_mul_i32 s0, s15, s0
	s_sub_i32 s0, s16, s0
	;; [unrolled: 5-line block ×3, first 2 shown]
	s_add_i32 s16, s16, s7
	s_cmp_lt_i32 s16, s10
	s_cselect_b64 s[0:1], -1, 0
	s_add_i32 s17, s17, s8
	s_cmp_lt_i32 s17, s13
	s_cselect_b64 s[2:3], -1, 0
	s_and_b64 s[0:1], s[0:1], s[2:3]
	s_andn2_b64 vcc, exec, s[0:1]
	s_cbranch_vccnz .LBB15_6
; %bb.1:
	s_mul_i32 s9, s9, s10
	s_load_dwordx4 s[0:3], s[4:5], 0x0
	s_mul_i32 s15, s15, s13
	s_add_i32 s4, s16, s9
	s_mul_i32 s4, s4, s11
	s_add_i32 s5, s17, s15
	s_add_i32 s5, s5, s4
	v_lshl_or_b32 v2, s5, 7, v0
	v_ashrrev_i32_e32 v3, 31, v2
	v_lshlrev_b64 v[2:3], 2, v[2:3]
	s_waitcnt lgkmcnt(0)
	v_mov_b32_e32 v1, s1
	v_add_co_u32_e32 v2, vcc, s0, v2
	v_addc_co_u32_e32 v3, vcc, v1, v3, vcc
	global_load_dword v8, v[2:3], off
	s_mul_i32 s4, s6, s14
	s_add_i32 s7, s7, s8
	s_add_i32 s6, s4, s14
	;; [unrolled: 1-line block ×3, first 2 shown]
	s_add_i32 s0, s8, -1
	s_ashr_i32 s1, s0, 31
	s_lshl_b64 s[0:1], s[0:1], 3
	s_add_u32 s0, s2, s0
	s_addc_u32 s1, s3, s1
	s_load_dword s9, s[0:1], 0x4
	s_add_i32 s5, s6, -2
	s_cmp_lt_i32 s5, s4
	s_cbranch_scc1 .LBB15_4
; %bb.2:
	s_lshl_b32 s10, s12, 2
	s_load_dword s0, s[0:1], 0x0
	s_ashr_i32 s11, s10, 31
	s_lshl_b64 s[10:11], s[10:11], 2
	s_add_u32 s5, s2, s10
	s_addc_u32 s10, s3, s11
	v_lshl_or_b32 v0, s8, 7, v0
	s_add_i32 s6, s6, -1
	s_add_i32 s7, s7, s12
	v_add_u32_e32 v0, 0xffffff00, v0
	s_waitcnt lgkmcnt(0)
	v_mov_b32_e32 v7, s9
	v_mov_b32_e32 v6, s0
	;; [unrolled: 1-line block ×3, first 2 shown]
	s_mov_b32 s8, 0x3fb8aa3b
	s_mov_b32 s9, 0xc2ce8ed0
	;; [unrolled: 1-line block ×3, first 2 shown]
	v_mov_b32_e32 v5, 0x7f800000
	s_mov_b32 s11, 0xc1a00000
.LBB15_3:                               ; =>This Inner Loop Header: Depth=1
	v_ashrrev_i32_e32 v1, 31, v0
	v_lshlrev_b64 v[10:11], 2, v[0:1]
	v_add_co_u32_e32 v10, vcc, s5, v10
	v_addc_co_u32_e32 v11, vcc, v4, v11, vcc
	global_load_dword v1, v[10:11], off
	s_add_i32 s6, s6, -1
	s_add_i32 s0, s6, s7
	s_ashr_i32 s1, s0, 31
	s_lshl_b64 s[0:1], s[0:1], 3
	s_add_u32 s0, s2, s0
	s_addc_u32 s1, s3, s1
	s_load_dwordx2 s[12:13], s[0:1], 0x0
	s_waitcnt vmcnt(1)
	v_mov_b32_e32 v9, v8
	v_max_f32_e32 v8, v6, v6
	v_mov_b32_e32 v10, v7
	v_add_u32_e32 v0, 0xffffff80, v0
	s_waitcnt lgkmcnt(0)
	v_max_f32_e64 v7, s12, s12
	v_max_f32_e32 v7, v8, v7
	v_sub_f32_e32 v11, s12, v7
	v_sub_f32_e32 v8, v6, v7
	v_mul_f32_e32 v12, 0x3fb8aa3b, v11
	v_mov_b32_e32 v6, v7
	v_mul_f32_e32 v7, 0x3fb8aa3b, v8
	v_fma_f32 v15, v11, s8, -v12
	v_rndne_f32_e32 v16, v12
	v_fma_f32 v13, v8, s8, -v7
	v_rndne_f32_e32 v14, v7
	v_fmac_f32_e32 v15, 0x32a5705f, v11
	v_sub_f32_e32 v12, v12, v16
	v_fmac_f32_e32 v13, 0x32a5705f, v8
	v_sub_f32_e32 v7, v7, v14
	v_add_f32_e32 v12, v12, v15
	v_cvt_i32_f32_e32 v16, v16
	v_add_f32_e32 v7, v7, v13
	v_exp_f32_e32 v12, v12
	v_cvt_i32_f32_e32 v14, v14
	v_exp_f32_e32 v7, v7
	v_cmp_ngt_f32_e32 vcc, s9, v11
	v_ldexp_f32 v12, v12, v16
	v_cmp_ngt_f32_e64 s[0:1], s9, v8
	v_ldexp_f32 v7, v7, v14
	v_cndmask_b32_e32 v12, 0, v12, vcc
	v_cmp_nlt_f32_e32 vcc, s10, v11
	v_cndmask_b32_e64 v7, 0, v7, s[0:1]
	v_cmp_nlt_f32_e64 s[0:1], s10, v8
	v_cndmask_b32_e32 v12, v5, v12, vcc
	v_cmp_le_f32_e32 vcc, s11, v11
	v_cndmask_b32_e64 v7, v5, v7, s[0:1]
	v_cmp_le_f32_e64 s[0:1], s11, v8
	v_cndmask_b32_e32 v8, 0, v12, vcc
	v_cndmask_b32_e64 v11, 0, v7, s[0:1]
	v_mul_f32_e32 v7, s13, v8
	s_cmp_le_i32 s6, s4
	v_fmac_f32_e32 v7, v10, v11
	s_waitcnt vmcnt(0)
	v_mul_f32_e32 v8, v1, v8
	v_fmac_f32_e32 v8, v9, v11
	s_cbranch_scc0 .LBB15_3
	s_branch .LBB15_5
.LBB15_4:
	s_waitcnt lgkmcnt(0)
	v_mov_b32_e32 v7, s9
.LBB15_5:
	s_waitcnt vmcnt(0)
	v_div_scale_f32 v0, s[0:1], v7, v7, v8
	v_rcp_f32_e32 v1, v0
	v_div_scale_f32 v4, vcc, v8, v7, v8
	v_fma_f32 v5, -v0, v1, 1.0
	v_fmac_f32_e32 v1, v5, v1
	v_mul_f32_e32 v5, v4, v1
	v_fma_f32 v6, -v0, v5, v4
	v_fmac_f32_e32 v5, v6, v1
	v_fma_f32 v0, -v0, v5, v4
	v_div_fmas_f32 v0, v0, v1, v5
	v_div_fixup_f32 v0, v0, v7, v8
	global_store_dword v[2:3], v0, off
.LBB15_6:
	s_endpgm
	.section	.rodata,"a",@progbits
	.p2align	6, 0x0
	.amdhsa_kernel _ZL33flash_attn_stream_k_fixup_uniformILi128ELi1ELi1EEvPfPK15HIP_vector_typeIfLj2EEiiiiiiS1_IjLj3EES5_S5_
		.amdhsa_group_segment_fixed_size 0
		.amdhsa_private_segment_fixed_size 0
		.amdhsa_kernarg_size 76
		.amdhsa_user_sgpr_count 6
		.amdhsa_user_sgpr_private_segment_buffer 1
		.amdhsa_user_sgpr_dispatch_ptr 0
		.amdhsa_user_sgpr_queue_ptr 0
		.amdhsa_user_sgpr_kernarg_segment_ptr 1
		.amdhsa_user_sgpr_dispatch_id 0
		.amdhsa_user_sgpr_flat_scratch_init 0
		.amdhsa_user_sgpr_kernarg_preload_length 0
		.amdhsa_user_sgpr_kernarg_preload_offset 0
		.amdhsa_user_sgpr_private_segment_size 0
		.amdhsa_uses_dynamic_stack 0
		.amdhsa_system_sgpr_private_segment_wavefront_offset 0
		.amdhsa_system_sgpr_workgroup_id_x 1
		.amdhsa_system_sgpr_workgroup_id_y 1
		.amdhsa_system_sgpr_workgroup_id_z 1
		.amdhsa_system_sgpr_workgroup_info 0
		.amdhsa_system_vgpr_workitem_id 0
		.amdhsa_next_free_vgpr 17
		.amdhsa_next_free_sgpr 20
		.amdhsa_accum_offset 20
		.amdhsa_reserve_vcc 1
		.amdhsa_reserve_flat_scratch 0
		.amdhsa_float_round_mode_32 0
		.amdhsa_float_round_mode_16_64 0
		.amdhsa_float_denorm_mode_32 3
		.amdhsa_float_denorm_mode_16_64 3
		.amdhsa_dx10_clamp 1
		.amdhsa_ieee_mode 1
		.amdhsa_fp16_overflow 0
		.amdhsa_tg_split 0
		.amdhsa_exception_fp_ieee_invalid_op 0
		.amdhsa_exception_fp_denorm_src 0
		.amdhsa_exception_fp_ieee_div_zero 0
		.amdhsa_exception_fp_ieee_overflow 0
		.amdhsa_exception_fp_ieee_underflow 0
		.amdhsa_exception_fp_ieee_inexact 0
		.amdhsa_exception_int_div_zero 0
	.end_amdhsa_kernel
	.section	.text._ZL33flash_attn_stream_k_fixup_uniformILi128ELi1ELi1EEvPfPK15HIP_vector_typeIfLj2EEiiiiiiS1_IjLj3EES5_S5_,"axG",@progbits,_ZL33flash_attn_stream_k_fixup_uniformILi128ELi1ELi1EEvPfPK15HIP_vector_typeIfLj2EEiiiiiiS1_IjLj3EES5_S5_,comdat
.Lfunc_end15:
	.size	_ZL33flash_attn_stream_k_fixup_uniformILi128ELi1ELi1EEvPfPK15HIP_vector_typeIfLj2EEiiiiiiS1_IjLj3EES5_S5_, .Lfunc_end15-_ZL33flash_attn_stream_k_fixup_uniformILi128ELi1ELi1EEvPfPK15HIP_vector_typeIfLj2EEiiiiiiS1_IjLj3EES5_S5_
                                        ; -- End function
	.section	.AMDGPU.csdata,"",@progbits
; Kernel info:
; codeLenInByte = 780
; NumSgprs: 24
; NumVgprs: 17
; NumAgprs: 0
; TotalNumVgprs: 17
; ScratchSize: 0
; MemoryBound: 0
; FloatMode: 240
; IeeeMode: 1
; LDSByteSize: 0 bytes/workgroup (compile time only)
; SGPRBlocks: 2
; VGPRBlocks: 2
; NumSGPRsForWavesPerEU: 24
; NumVGPRsForWavesPerEU: 17
; AccumOffset: 20
; Occupancy: 8
; WaveLimiterHint : 0
; COMPUTE_PGM_RSRC2:SCRATCH_EN: 0
; COMPUTE_PGM_RSRC2:USER_SGPR: 6
; COMPUTE_PGM_RSRC2:TRAP_HANDLER: 0
; COMPUTE_PGM_RSRC2:TGID_X_EN: 1
; COMPUTE_PGM_RSRC2:TGID_Y_EN: 1
; COMPUTE_PGM_RSRC2:TGID_Z_EN: 1
; COMPUTE_PGM_RSRC2:TIDIG_COMP_CNT: 0
; COMPUTE_PGM_RSRC3_GFX90A:ACCUM_OFFSET: 4
; COMPUTE_PGM_RSRC3_GFX90A:TG_SPLIT: 0
	.section	.text._ZL33flash_attn_stream_k_fixup_generalILi128ELi1ELi1EEvPfPK15HIP_vector_typeIfLj2EEiiiiS1_IjLj3EES5_S5_S5_,"axG",@progbits,_ZL33flash_attn_stream_k_fixup_generalILi128ELi1ELi1EEvPfPK15HIP_vector_typeIfLj2EEiiiiS1_IjLj3EES5_S5_S5_,comdat
	.globl	_ZL33flash_attn_stream_k_fixup_generalILi128ELi1ELi1EEvPfPK15HIP_vector_typeIfLj2EEiiiiS1_IjLj3EES5_S5_S5_ ; -- Begin function _ZL33flash_attn_stream_k_fixup_generalILi128ELi1ELi1EEvPfPK15HIP_vector_typeIfLj2EEiiiiS1_IjLj3EES5_S5_S5_
	.p2align	8
	.type	_ZL33flash_attn_stream_k_fixup_generalILi128ELi1ELi1EEvPfPK15HIP_vector_typeIfLj2EEiiiiS1_IjLj3EES5_S5_S5_,@function
_ZL33flash_attn_stream_k_fixup_generalILi128ELi1ELi1EEvPfPK15HIP_vector_typeIfLj2EEiiiiS1_IjLj3EES5_S5_S5_: ; @_ZL33flash_attn_stream_k_fixup_generalILi128ELi1ELi1EEvPfPK15HIP_vector_typeIfLj2EEiiiiS1_IjLj3EES5_S5_S5_
; %bb.0:
	s_load_dwordx4 s[12:15], s[4:5], 0x10
	s_load_dword s9, s[4:5], 0x50
	s_mov_b32 s2, 0
	s_waitcnt lgkmcnt(0)
	s_mul_hi_i32 s3, s15, s6
	s_cmp_lg_u64 s[2:3], 0
	s_mul_i32 s2, s15, s6
	s_cbranch_scc0 .LBB16_21
; %bb.1:
	v_cvt_f32_u32_e32 v1, s9
	v_cvt_f32_ubyte0_e32 v2, 0
	s_sub_u32 s10, 0, s9
	s_subb_u32 s11, 0, 0
	v_madmk_f32 v1, v2, 0x4f800000, v1
	v_rcp_f32_e32 v1, v1
	v_mul_f32_e32 v1, 0x5f7ffffc, v1
	v_mul_f32_e32 v2, 0x2f800000, v1
	v_trunc_f32_e32 v2, v2
	v_madmk_f32 v1, v2, 0xcf800000, v1
	v_cvt_u32_f32_e32 v2, v2
	v_cvt_u32_f32_e32 v1, v1
	v_readfirstlane_b32 s16, v2
	v_readfirstlane_b32 s17, v1
	s_mul_i32 s18, s10, s16
	s_mul_hi_u32 s20, s10, s17
	s_mul_i32 s19, s11, s17
	s_add_i32 s18, s20, s18
	s_add_i32 s18, s18, s19
	s_mul_i32 s21, s10, s17
	s_mul_hi_u32 s19, s17, s18
	s_mul_i32 s20, s17, s18
	s_mul_hi_u32 s17, s17, s21
	s_add_u32 s17, s17, s20
	s_addc_u32 s19, 0, s19
	s_mul_hi_u32 s22, s16, s21
	s_mul_i32 s21, s16, s21
	s_add_u32 s17, s17, s21
	s_mul_hi_u32 s20, s16, s18
	s_addc_u32 s17, s19, s22
	s_addc_u32 s19, s20, 0
	s_mul_i32 s18, s16, s18
	s_add_u32 s17, s17, s18
	s_addc_u32 s18, 0, s19
	v_add_co_u32_e32 v1, vcc, s17, v1
	s_cmp_lg_u64 vcc, 0
	s_addc_u32 s16, s16, s18
	v_readfirstlane_b32 s18, v1
	s_mul_i32 s17, s10, s16
	s_mul_hi_u32 s19, s10, s18
	s_add_i32 s17, s19, s17
	s_mul_i32 s11, s11, s18
	s_add_i32 s17, s17, s11
	s_mul_i32 s10, s10, s18
	s_mul_hi_u32 s19, s16, s10
	s_mul_i32 s20, s16, s10
	s_mul_i32 s22, s18, s17
	s_mul_hi_u32 s10, s18, s10
	s_mul_hi_u32 s21, s18, s17
	s_add_u32 s10, s10, s22
	s_addc_u32 s18, 0, s21
	s_add_u32 s10, s10, s20
	s_mul_hi_u32 s11, s16, s17
	s_addc_u32 s10, s18, s19
	s_addc_u32 s11, s11, 0
	s_mul_i32 s17, s16, s17
	s_add_u32 s10, s10, s17
	s_addc_u32 s11, 0, s11
	v_add_co_u32_e32 v1, vcc, s10, v1
	s_cmp_lg_u64 vcc, 0
	s_addc_u32 s18, s16, s11
	s_ashr_i32 s10, s3, 31
	s_add_u32 s16, s2, s10
	s_mov_b32 s11, s10
	s_addc_u32 s17, s3, s10
	s_xor_b64 s[16:17], s[16:17], s[10:11]
	v_readfirstlane_b32 s20, v1
	s_mul_i32 s19, s16, s18
	s_mul_hi_u32 s21, s16, s20
	s_mul_hi_u32 s3, s16, s18
	s_add_u32 s19, s21, s19
	s_addc_u32 s3, 0, s3
	s_mul_hi_u32 s22, s17, s20
	s_mul_i32 s20, s17, s20
	s_add_u32 s19, s19, s20
	s_mul_hi_u32 s21, s17, s18
	s_addc_u32 s3, s3, s22
	s_addc_u32 s19, s21, 0
	s_mul_i32 s18, s17, s18
	s_add_u32 s3, s3, s18
	s_addc_u32 s18, 0, s19
	s_add_u32 s19, s3, 1
	s_addc_u32 s20, s18, 0
	s_add_u32 s21, s3, 2
	s_mul_i32 s23, s9, s18
	s_mul_hi_u32 s24, s9, s3
	s_addc_u32 s22, s18, 0
	s_add_i32 s24, s24, s23
	s_mul_i32 s23, s9, s3
	v_mov_b32_e32 v1, s23
	v_sub_co_u32_e32 v1, vcc, s16, v1
	s_cmp_lg_u64 vcc, 0
	s_subb_u32 s16, s17, s24
	v_subrev_co_u32_e32 v2, vcc, s9, v1
	s_cmp_lg_u64 vcc, 0
	s_subb_u32 s17, s16, 0
	v_readfirstlane_b32 s23, v2
	s_cmp_ge_u32 s23, s9
	s_cselect_b32 s23, -1, 0
	s_cmp_eq_u32 s17, 0
	s_cselect_b32 s17, s23, -1
	s_cmp_lg_u32 s17, 0
	s_cselect_b32 s17, s22, s20
	v_readfirstlane_b32 s20, v1
	s_cselect_b32 s19, s21, s19
	s_cmp_ge_u32 s20, s9
	s_cselect_b32 s20, -1, 0
	s_cmp_eq_u32 s16, 0
	s_cselect_b32 s16, s20, -1
	s_cmp_lg_u32 s16, 0
	s_cselect_b32 s17, s17, s18
	s_cselect_b32 s16, s19, s3
	s_xor_b64 s[16:17], s[16:17], s[10:11]
	s_sub_u32 s20, s16, s10
	s_load_dwordx4 s[16:19], s[4:5], 0x44
	s_cbranch_execnz .LBB16_3
.LBB16_2:
	v_cvt_f32_u32_e32 v1, s9
	s_sub_i32 s0, 0, s9
	v_rcp_iflag_f32_e32 v1, v1
	v_mul_f32_e32 v1, 0x4f7ffffe, v1
	v_cvt_u32_f32_e32 v1, v1
	v_readfirstlane_b32 s1, v1
	s_mul_i32 s0, s0, s1
	s_mul_hi_u32 s0, s1, s0
	s_add_i32 s1, s1, s0
	s_mul_hi_u32 s0, s2, s1
	s_mul_i32 s3, s0, s9
	s_sub_i32 s2, s2, s3
	s_add_i32 s1, s0, 1
	s_sub_i32 s3, s2, s9
	s_cmp_ge_u32 s2, s9
	s_cselect_b32 s0, s1, s0
	s_cselect_b32 s2, s3, s2
	s_add_i32 s1, s0, 1
	s_cmp_ge_u32 s2, s9
	s_cselect_b32 s20, s1, s0
.LBB16_3:
	s_add_i32 s0, s6, 1
	s_mul_hi_i32 s3, s15, s0
	s_mov_b32 s2, 0
	s_cmp_lg_u64 s[2:3], 0
	s_mul_i32 s2, s15, s0
	s_cbranch_scc0 .LBB16_22
; %bb.4:
	v_cvt_f32_u32_e32 v1, s9
	v_cvt_f32_ubyte0_e32 v2, 0
	s_sub_u32 s10, 0, s9
	s_subb_u32 s11, 0, 0
	v_madmk_f32 v1, v2, 0x4f800000, v1
	v_rcp_f32_e32 v1, v1
	v_mul_f32_e32 v1, 0x5f7ffffc, v1
	v_mul_f32_e32 v2, 0x2f800000, v1
	v_trunc_f32_e32 v2, v2
	v_madmk_f32 v1, v2, 0xcf800000, v1
	v_cvt_u32_f32_e32 v2, v2
	v_cvt_u32_f32_e32 v1, v1
	s_waitcnt lgkmcnt(0)
	v_readfirstlane_b32 s19, v2
	v_readfirstlane_b32 s21, v1
	s_mul_i32 s22, s10, s19
	s_mul_hi_u32 s24, s10, s21
	s_mul_i32 s23, s11, s21
	s_add_i32 s22, s24, s22
	s_add_i32 s22, s22, s23
	s_mul_i32 s25, s10, s21
	s_mul_hi_u32 s23, s21, s22
	s_mul_i32 s24, s21, s22
	s_mul_hi_u32 s21, s21, s25
	s_add_u32 s21, s21, s24
	s_addc_u32 s23, 0, s23
	s_mul_hi_u32 s26, s19, s25
	s_mul_i32 s25, s19, s25
	s_add_u32 s21, s21, s25
	s_mul_hi_u32 s24, s19, s22
	s_addc_u32 s21, s23, s26
	s_addc_u32 s23, s24, 0
	s_mul_i32 s22, s19, s22
	s_add_u32 s21, s21, s22
	s_addc_u32 s22, 0, s23
	v_add_co_u32_e32 v1, vcc, s21, v1
	s_cmp_lg_u64 vcc, 0
	s_addc_u32 s19, s19, s22
	v_readfirstlane_b32 s22, v1
	s_mul_i32 s21, s10, s19
	s_mul_hi_u32 s23, s10, s22
	s_add_i32 s21, s23, s21
	s_mul_i32 s11, s11, s22
	s_add_i32 s21, s21, s11
	s_mul_i32 s10, s10, s22
	s_mul_hi_u32 s23, s19, s10
	s_mul_i32 s24, s19, s10
	s_mul_i32 s26, s22, s21
	s_mul_hi_u32 s10, s22, s10
	s_mul_hi_u32 s25, s22, s21
	s_add_u32 s10, s10, s26
	s_addc_u32 s22, 0, s25
	s_add_u32 s10, s10, s24
	s_mul_hi_u32 s11, s19, s21
	s_addc_u32 s10, s22, s23
	s_addc_u32 s11, s11, 0
	s_mul_i32 s21, s19, s21
	s_add_u32 s10, s10, s21
	s_addc_u32 s11, 0, s11
	v_add_co_u32_e32 v1, vcc, s10, v1
	s_cmp_lg_u64 vcc, 0
	s_addc_u32 s19, s19, s11
	s_ashr_i32 s10, s3, 31
	s_add_u32 s22, s2, s10
	s_mov_b32 s11, s10
	s_addc_u32 s23, s3, s10
	s_xor_b64 s[22:23], s[22:23], s[10:11]
	v_readfirstlane_b32 s21, v1
	s_mul_i32 s11, s22, s19
	s_mul_hi_u32 s24, s22, s21
	s_mul_hi_u32 s3, s22, s19
	s_add_u32 s11, s24, s11
	s_addc_u32 s3, 0, s3
	s_mul_hi_u32 s25, s23, s21
	s_mul_i32 s21, s23, s21
	s_add_u32 s11, s11, s21
	s_mul_hi_u32 s24, s23, s19
	s_addc_u32 s3, s3, s25
	s_addc_u32 s11, s24, 0
	s_mul_i32 s19, s23, s19
	s_add_u32 s3, s3, s19
	s_addc_u32 s11, 0, s11
	s_mul_i32 s11, s9, s11
	s_mul_hi_u32 s24, s9, s3
	s_add_i32 s24, s24, s11
	s_mul_i32 s11, s9, s3
	v_mov_b32_e32 v1, s11
	s_add_u32 s19, s3, 1
	s_add_u32 s21, s3, 2
	v_sub_co_u32_e32 v1, vcc, s22, v1
	s_cmp_lg_u64 vcc, 0
	s_subb_u32 s11, s23, s24
	v_subrev_co_u32_e32 v2, vcc, s9, v1
	s_cmp_lg_u64 vcc, 0
	s_subb_u32 s22, s11, 0
	v_cmp_le_u32_e32 vcc, s9, v2
	s_cmp_eq_u32 s22, 0
	v_cndmask_b32_e64 v2, 0, -1, vcc
	s_cselect_b64 vcc, -1, 0
	v_cndmask_b32_e32 v2, -1, v2, vcc
	v_mov_b32_e32 v3, s19
	v_mov_b32_e32 v4, s21
	v_cmp_ne_u32_e32 vcc, 0, v2
	v_cndmask_b32_e32 v2, v3, v4, vcc
	v_cmp_le_u32_e32 vcc, s9, v1
	s_cmp_eq_u32 s11, 0
	v_cndmask_b32_e64 v1, 0, -1, vcc
	s_cselect_b64 vcc, -1, 0
	v_cndmask_b32_e32 v1, -1, v1, vcc
	v_mov_b32_e32 v3, s3
	v_cmp_ne_u32_e32 vcc, 0, v1
	v_cndmask_b32_e32 v1, v3, v2, vcc
	v_xor_b32_e32 v1, s10, v1
	v_subrev_co_u32_e32 v2, vcc, s10, v1
	s_cbranch_execnz .LBB16_6
.LBB16_5:
	v_cvt_f32_u32_e32 v1, s9
	s_sub_i32 s0, 0, s9
	s_mov_b32 s1, 0
	v_rcp_iflag_f32_e32 v1, v1
	v_mul_f32_e32 v1, 0x4f7ffffe, v1
	v_cvt_u32_f32_e32 v1, v1
	v_readfirstlane_b32 s3, v1
	s_mul_i32 s0, s0, s3
	s_mul_hi_u32 s0, s3, s0
	s_add_i32 s3, s3, s0
	s_mul_hi_u32 s0, s2, s3
	s_mul_i32 s10, s0, s9
	s_sub_i32 s2, s2, s10
	s_add_i32 s3, s0, 1
	s_sub_i32 s10, s2, s9
	s_cmp_ge_u32 s2, s9
	s_cselect_b32 s0, s3, s0
	s_cselect_b32 s2, s10, s2
	s_add_i32 s3, s0, 1
	s_cmp_ge_u32 s2, s9
	s_cselect_b32 s0, s3, s0
	v_pk_mov_b32 v[2:3], s[0:1], s[0:1] op_sel:[0,1]
.LBB16_6:
	s_waitcnt lgkmcnt(0)
	s_mul_hi_u32 s0, s20, s16
	s_add_i32 s0, s0, s20
	v_mul_hi_u32 v1, v2, s16
	s_lshr_b32 s19, s0, s17
	v_add_u32_e32 v1, v1, v2
	s_mul_i32 s0, s19, s18
	v_lshrrev_b32_e32 v1, s17, v1
	s_cmp_eq_u32 s0, s20
	v_cmp_eq_u32_e64 s[0:1], s19, v1
	v_mul_lo_u32 v1, v1, s18
	v_cmp_eq_u32_e32 vcc, s20, v2
	s_cselect_b64 s[10:11], -1, 0
	v_cmp_ne_u32_e64 s[2:3], v1, v2
	s_and_b64 s[0:1], s[0:1], s[2:3]
	s_or_b64 s[2:3], vcc, s[10:11]
	s_or_b64 s[0:1], s[2:3], s[0:1]
	s_and_b64 vcc, exec, s[0:1]
	s_cbranch_vccnz .LBB16_24
; %bb.7:
	s_load_dwordx8 s[24:31], s[4:5], 0x20
	s_load_dword s0, s[4:5], 0x40
	s_mov_b32 s10, 0
	s_waitcnt lgkmcnt(0)
	s_mul_hi_u32 s1, s20, s24
	s_add_i32 s1, s1, s20
	s_lshr_b32 s11, s1, s25
	s_mul_i32 s1, s11, s26
	s_sub_i32 s1, s20, s1
	s_mul_hi_u32 s2, s1, s27
	s_add_i32 s2, s1, s2
	s_lshr_b32 s22, s2, s28
	s_mul_i32 s2, s22, s29
	s_sub_i32 s1, s1, s2
	;; [unrolled: 5-line block ×3, first 2 shown]
	s_mul_hi_u32 s1, s0, s16
	s_add_i32 s0, s0, s1
	s_lshr_b32 s23, s0, s17
	s_add_i32 s23, s23, s7
	s_cmp_lt_i32 s23, s12
	s_cselect_b64 s[0:1], -1, 0
	s_add_i32 s24, s24, s8
	s_cmp_lt_i32 s24, s14
	s_cselect_b64 s[2:3], -1, 0
	s_and_b64 s[0:1], s[0:1], s[2:3]
	s_andn2_b64 vcc, exec, s[0:1]
	s_cbranch_vccnz .LBB16_24
; %bb.8:
	s_load_dwordx4 s[0:3], s[4:5], 0x0
	s_lshl_b32 s4, s9, 2
	s_mov_b32 s5, s10
	s_add_i32 s7, s7, s8
	s_lshl_b64 s[4:5], s[4:5], 2
	s_waitcnt lgkmcnt(0)
	s_add_u32 s8, s2, s4
	s_mul_i32 s11, s11, s12
	s_addc_u32 s21, s3, s5
	s_mul_i32 s22, s22, s14
	s_add_i32 s4, s23, s11
	s_mul_i32 s4, s4, s13
	s_add_i32 s5, s24, s22
	s_add_i32 s5, s5, s4
	v_lshl_or_b32 v2, s5, 7, v0
	v_ashrrev_i32_e32 v3, 31, v2
	v_lshlrev_b64 v[2:3], 2, v[2:3]
	v_mov_b32_e32 v1, s1
	v_add_co_u32_e32 v2, vcc, s0, v2
	v_addc_co_u32_e32 v3, vcc, v1, v3, vcc
	global_load_dword v1, v[2:3], off
	v_cvt_f32_u32_e32 v4, s9
	v_cvt_f32_ubyte0_e32 v5, 0
	s_add_i32 s0, s7, s6
	s_ashr_i32 s1, s0, 31
	v_mac_f32_e32 v4, 0x4f800000, v5
	v_rcp_f32_e32 v4, v4
	v_cvt_f32_u32_e32 v5, s9
	s_lshl_b64 s[0:1], s[0:1], 3
	s_add_u32 s0, s2, s0
	v_mul_f32_e32 v4, 0x5f7ffffc, v4
	v_rcp_iflag_f32_e32 v5, v5
	v_mul_f32_e32 v9, 0x2f800000, v4
	s_addc_u32 s1, s3, s1
	v_trunc_f32_e32 v10, v9
	s_load_dwordx2 s[0:1], s[0:1], 0x0
	v_mac_f32_e32 v4, 0xcf800000, v10
	v_cvt_u32_f32_e32 v9, v4
	v_mul_f32_e32 v4, 0x4f7ffffe, v5
	v_cvt_u32_f32_e32 v10, v10
	v_cvt_u32_f32_e32 v11, v4
	s_add_i32 s13, s6, -1
	s_waitcnt lgkmcnt(0)
	v_mov_b32_e32 v6, s1
	v_mov_b32_e32 v7, s0
	;; [unrolled: 1-line block ×3, first 2 shown]
	s_mov_b32 s6, 0x3fb8aa3b
	s_mov_b32 s12, 0xc2ce8ed0
	;; [unrolled: 1-line block ×4, first 2 shown]
	v_mov_b32_e32 v12, 0x7f800000
	s_mul_hi_i32 s11, s13, s15
	s_cmp_lg_u64 s[10:11], 0
	s_mul_i32 s4, s13, s15
	s_cbranch_scc0 .LBB16_15
.LBB16_9:
	s_sub_u32 s0, 0, s9
	v_readfirstlane_b32 s5, v9
	v_readfirstlane_b32 s24, v10
	s_subb_u32 s1, 0, 0
	s_mul_hi_u32 s23, s0, s5
	s_mul_i32 s25, s0, s24
	s_mul_i32 s22, s1, s5
	s_add_i32 s23, s23, s25
	s_add_i32 s23, s23, s22
	s_mul_i32 s26, s0, s5
	s_mul_hi_u32 s22, s5, s23
	s_mul_i32 s25, s5, s23
	s_mul_hi_u32 s5, s5, s26
	s_add_u32 s5, s5, s25
	s_addc_u32 s22, 0, s22
	s_mul_hi_u32 s27, s24, s26
	s_mul_i32 s26, s24, s26
	s_add_u32 s5, s5, s26
	s_mul_hi_u32 s25, s24, s23
	s_addc_u32 s5, s22, s27
	s_addc_u32 s22, s25, 0
	s_mul_i32 s23, s24, s23
	s_add_u32 s5, s5, s23
	s_addc_u32 s22, 0, s22
	v_add_co_u32_e32 v4, vcc, s5, v9
	s_cmp_lg_u64 vcc, 0
	s_addc_u32 s5, s24, s22
	v_readfirstlane_b32 s23, v4
	s_mul_i32 s22, s0, s5
	s_mul_hi_u32 s24, s0, s23
	s_add_i32 s22, s24, s22
	s_mul_i32 s1, s1, s23
	s_add_i32 s22, s22, s1
	s_mul_i32 s0, s0, s23
	s_mul_hi_u32 s24, s5, s0
	s_mul_i32 s25, s5, s0
	s_mul_i32 s27, s23, s22
	s_mul_hi_u32 s0, s23, s0
	s_mul_hi_u32 s26, s23, s22
	s_add_u32 s0, s0, s27
	s_addc_u32 s23, 0, s26
	s_add_u32 s0, s0, s25
	s_mul_hi_u32 s1, s5, s22
	s_addc_u32 s0, s23, s24
	s_addc_u32 s1, s1, 0
	s_mul_i32 s22, s5, s22
	s_add_u32 s0, s0, s22
	s_addc_u32 s1, 0, s1
	v_add_co_u32_e32 v4, vcc, s0, v4
	s_cmp_lg_u64 vcc, 0
	s_addc_u32 s5, s5, s1
	s_ashr_i32 s0, s11, 31
	s_add_u32 s22, s4, s0
	s_mov_b32 s1, s0
	s_addc_u32 s23, s11, s0
	s_xor_b64 s[22:23], s[22:23], s[0:1]
	v_readfirstlane_b32 s24, v4
	s_mul_i32 s11, s22, s5
	s_mul_hi_u32 s25, s22, s24
	s_mul_hi_u32 s1, s22, s5
	s_add_u32 s11, s25, s11
	s_addc_u32 s1, 0, s1
	s_mul_hi_u32 s26, s23, s24
	s_mul_i32 s24, s23, s24
	s_add_u32 s11, s11, s24
	s_mul_hi_u32 s25, s23, s5
	s_addc_u32 s1, s1, s26
	s_addc_u32 s11, s25, 0
	s_mul_i32 s5, s23, s5
	s_add_u32 s1, s1, s5
	s_addc_u32 s5, 0, s11
	s_mul_i32 s5, s9, s5
	s_mul_hi_u32 s25, s9, s1
	s_add_i32 s25, s25, s5
	s_mul_i32 s5, s9, s1
	v_mov_b32_e32 v4, s5
	s_add_u32 s11, s1, 1
	s_add_u32 s24, s1, 2
	v_sub_co_u32_e32 v4, vcc, s22, v4
	s_cmp_lg_u64 vcc, 0
	s_subb_u32 s5, s23, s25
	v_subrev_co_u32_e32 v5, vcc, s9, v4
	s_cmp_lg_u64 vcc, 0
	s_subb_u32 s22, s5, 0
	v_cmp_le_u32_e32 vcc, s9, v5
	s_cmp_eq_u32 s22, 0
	v_cndmask_b32_e64 v5, 0, -1, vcc
	s_cselect_b64 vcc, -1, 0
	v_cndmask_b32_e32 v5, -1, v5, vcc
	v_mov_b32_e32 v13, s11
	v_mov_b32_e32 v14, s24
	v_cmp_ne_u32_e32 vcc, 0, v5
	v_cndmask_b32_e32 v5, v13, v14, vcc
	v_cmp_le_u32_e32 vcc, s9, v4
	s_cmp_eq_u32 s5, 0
	v_cndmask_b32_e64 v4, 0, -1, vcc
	s_cselect_b64 vcc, -1, 0
	v_cndmask_b32_e32 v4, -1, v4, vcc
	v_mov_b32_e32 v13, s1
	v_cmp_ne_u32_e32 vcc, 0, v4
	v_cndmask_b32_e32 v4, v13, v5, vcc
	v_xor_b32_e32 v4, s0, v4
	v_subrev_co_u32_e32 v4, vcc, s0, v4
	s_cbranch_execnz .LBB16_11
.LBB16_10:
	s_sub_i32 s0, 0, s9
	v_mul_lo_u32 v4, s0, v11
	v_mul_hi_u32 v4, v11, v4
	v_add_u32_e32 v4, v11, v4
	v_mul_hi_u32 v4, s4, v4
	v_mul_lo_u32 v13, v4, s9
	v_sub_u32_e32 v13, s4, v13
	v_add_u32_e32 v5, 1, v4
	v_subrev_u32_e32 v14, s9, v13
	v_cmp_le_u32_e32 vcc, s9, v13
	v_cndmask_b32_e32 v13, v13, v14, vcc
	v_cndmask_b32_e32 v4, v4, v5, vcc
	v_add_u32_e32 v5, 1, v4
	v_cmp_le_u32_e32 vcc, s9, v13
	v_cndmask_b32_e32 v4, v4, v5, vcc
.LBB16_11:
	v_cmp_ne_u32_e32 vcc, v8, v4
	s_cbranch_vccz .LBB16_14
; %bb.12:
	s_add_i32 s22, s13, s7
	v_mul_hi_u32 v5, v4, s16
	s_add_i32 s0, s22, s9
	s_mov_b32 s1, s10
	v_add_u32_e32 v5, v5, v4
	s_lshl_b64 s[0:1], s[0:1], 3
	v_lshrrev_b32_e32 v5, s17, v5
	s_add_u32 s4, s2, s0
	v_mul_lo_u32 v13, v5, s18
	s_addc_u32 s5, s3, s1
	v_cmp_eq_u32_e32 vcc, v13, v4
	v_cmp_gt_u32_e64 s[0:1], s19, v5
	s_or_b64 s[0:1], s[0:1], vcc
	s_and_b64 vcc, exec, s[0:1]
	s_cbranch_vccnz .LBB16_16
; %bb.13:
	s_add_i32 s11, s13, -1
	s_mov_b64 s[0:1], 0
	s_branch .LBB16_17
.LBB16_14:
                                        ; implicit-def: $sgpr0_sgpr1
                                        ; implicit-def: $vgpr14
                                        ; implicit-def: $vgpr5
                                        ; implicit-def: $vgpr13
                                        ; implicit-def: $sgpr11
                                        ; implicit-def: $vgpr4
	s_branch .LBB16_18
.LBB16_15:
                                        ; implicit-def: $vgpr4_vgpr5
	s_branch .LBB16_10
.LBB16_16:
	s_mov_b64 s[0:1], -1
	s_mov_b32 s11, s13
	v_mov_b32_e32 v4, v8
.LBB16_17:
	v_lshl_or_b32 v14, s22, 7, v0
	v_ashrrev_i32_e32 v15, 31, v14
	v_lshlrev_b64 v[14:15], 2, v[14:15]
	v_mov_b32_e32 v5, s21
	v_add_co_u32_e32 v14, vcc, s8, v14
	v_addc_co_u32_e32 v15, vcc, v5, v15, vcc
	global_load_dword v14, v[14:15], off
	s_load_dwordx2 s[4:5], s[4:5], 0x0
	v_max_f32_e32 v5, v7, v7
	s_waitcnt lgkmcnt(0)
	v_max_f32_e64 v13, s4, s4
	v_max_f32_e32 v5, v5, v13
	v_sub_f32_e32 v13, v7, v5
	v_sub_f32_e32 v15, s4, v5
	v_mul_f32_e32 v16, 0x3fb8aa3b, v13
	v_mul_f32_e32 v17, 0x3fb8aa3b, v15
	v_fma_f32 v18, v13, s6, -v16
	v_rndne_f32_e32 v19, v16
	v_fma_f32 v20, v15, s6, -v17
	v_rndne_f32_e32 v21, v17
	v_fmac_f32_e32 v18, 0x32a5705f, v13
	v_sub_f32_e32 v16, v16, v19
	v_fmac_f32_e32 v20, 0x32a5705f, v15
	v_sub_f32_e32 v17, v17, v21
	v_add_f32_e32 v16, v16, v18
	v_cvt_i32_f32_e32 v19, v19
	v_add_f32_e32 v17, v17, v20
	v_exp_f32_e32 v16, v16
	v_cvt_i32_f32_e32 v21, v21
	v_exp_f32_e32 v17, v17
	v_cmp_ngt_f32_e32 vcc, s12, v13
	v_ldexp_f32 v16, v16, v19
	v_cndmask_b32_e32 v16, 0, v16, vcc
	v_ldexp_f32 v17, v17, v21
	v_cmp_ngt_f32_e32 vcc, s12, v15
	v_cndmask_b32_e32 v17, 0, v17, vcc
	v_cmp_nlt_f32_e32 vcc, s14, v13
	v_cndmask_b32_e32 v16, v12, v16, vcc
	v_cmp_nlt_f32_e32 vcc, s14, v15
	v_cndmask_b32_e32 v17, v12, v17, vcc
	v_cmp_le_f32_e32 vcc, s20, v13
	v_cndmask_b32_e32 v16, 0, v16, vcc
	v_cmp_le_f32_e32 vcc, s20, v15
	v_cndmask_b32_e32 v15, 0, v17, vcc
	v_mul_f32_e32 v13, s5, v15
	v_fmac_f32_e32 v13, v6, v16
	s_waitcnt vmcnt(0)
	v_mul_f32_e32 v14, v14, v15
	v_fmac_f32_e32 v14, v1, v16
	s_cbranch_execnz .LBB16_19
.LBB16_18:
	s_add_i32 s11, s13, -1
	s_mov_b64 s[0:1], 0
	v_mov_b32_e32 v4, v8
	v_mov_b32_e32 v13, v6
	;; [unrolled: 1-line block ×3, first 2 shown]
	s_waitcnt vmcnt(0)
	v_mov_b32_e32 v14, v1
.LBB16_19:
	s_andn2_b64 vcc, exec, s[0:1]
	s_cbranch_vccz .LBB16_23
; %bb.20:
	v_mov_b32_e32 v8, v4
	s_mov_b32 s13, s11
	v_mov_b32_e32 v6, v13
	v_mov_b32_e32 v7, v5
	s_waitcnt vmcnt(0)
	v_mov_b32_e32 v1, v14
	s_mul_hi_i32 s11, s13, s15
	s_cmp_lg_u64 s[10:11], 0
	s_mul_i32 s4, s13, s15
	s_cbranch_scc1 .LBB16_9
	s_branch .LBB16_15
.LBB16_21:
                                        ; implicit-def: $sgpr20_sgpr21
	s_load_dwordx4 s[16:19], s[4:5], 0x44
	s_branch .LBB16_2
.LBB16_22:
                                        ; implicit-def: $vgpr2_vgpr3
	s_branch .LBB16_5
.LBB16_23:
	v_div_scale_f32 v0, s[0:1], v13, v13, v14
	s_waitcnt vmcnt(0)
	v_rcp_f32_e32 v1, v0
	v_div_scale_f32 v4, vcc, v14, v13, v14
	v_fma_f32 v5, -v0, v1, 1.0
	v_fmac_f32_e32 v1, v5, v1
	v_mul_f32_e32 v5, v4, v1
	v_fma_f32 v6, -v0, v5, v4
	v_fmac_f32_e32 v5, v6, v1
	v_fma_f32 v0, -v0, v5, v4
	v_div_fmas_f32 v0, v0, v1, v5
	v_div_fixup_f32 v0, v0, v13, v14
	global_store_dword v[2:3], v0, off
.LBB16_24:
	s_endpgm
	.section	.rodata,"a",@progbits
	.p2align	6, 0x0
	.amdhsa_kernel _ZL33flash_attn_stream_k_fixup_generalILi128ELi1ELi1EEvPfPK15HIP_vector_typeIfLj2EEiiiiS1_IjLj3EES5_S5_S5_
		.amdhsa_group_segment_fixed_size 0
		.amdhsa_private_segment_fixed_size 0
		.amdhsa_kernarg_size 336
		.amdhsa_user_sgpr_count 6
		.amdhsa_user_sgpr_private_segment_buffer 1
		.amdhsa_user_sgpr_dispatch_ptr 0
		.amdhsa_user_sgpr_queue_ptr 0
		.amdhsa_user_sgpr_kernarg_segment_ptr 1
		.amdhsa_user_sgpr_dispatch_id 0
		.amdhsa_user_sgpr_flat_scratch_init 0
		.amdhsa_user_sgpr_kernarg_preload_length 0
		.amdhsa_user_sgpr_kernarg_preload_offset 0
		.amdhsa_user_sgpr_private_segment_size 0
		.amdhsa_uses_dynamic_stack 0
		.amdhsa_system_sgpr_private_segment_wavefront_offset 0
		.amdhsa_system_sgpr_workgroup_id_x 1
		.amdhsa_system_sgpr_workgroup_id_y 1
		.amdhsa_system_sgpr_workgroup_id_z 1
		.amdhsa_system_sgpr_workgroup_info 0
		.amdhsa_system_vgpr_workitem_id 0
		.amdhsa_next_free_vgpr 22
		.amdhsa_next_free_sgpr 32
		.amdhsa_accum_offset 24
		.amdhsa_reserve_vcc 1
		.amdhsa_reserve_flat_scratch 0
		.amdhsa_float_round_mode_32 0
		.amdhsa_float_round_mode_16_64 0
		.amdhsa_float_denorm_mode_32 3
		.amdhsa_float_denorm_mode_16_64 3
		.amdhsa_dx10_clamp 1
		.amdhsa_ieee_mode 1
		.amdhsa_fp16_overflow 0
		.amdhsa_tg_split 0
		.amdhsa_exception_fp_ieee_invalid_op 0
		.amdhsa_exception_fp_denorm_src 0
		.amdhsa_exception_fp_ieee_div_zero 0
		.amdhsa_exception_fp_ieee_overflow 0
		.amdhsa_exception_fp_ieee_underflow 0
		.amdhsa_exception_fp_ieee_inexact 0
		.amdhsa_exception_int_div_zero 0
	.end_amdhsa_kernel
	.section	.text._ZL33flash_attn_stream_k_fixup_generalILi128ELi1ELi1EEvPfPK15HIP_vector_typeIfLj2EEiiiiS1_IjLj3EES5_S5_S5_,"axG",@progbits,_ZL33flash_attn_stream_k_fixup_generalILi128ELi1ELi1EEvPfPK15HIP_vector_typeIfLj2EEiiiiS1_IjLj3EES5_S5_S5_,comdat
.Lfunc_end16:
	.size	_ZL33flash_attn_stream_k_fixup_generalILi128ELi1ELi1EEvPfPK15HIP_vector_typeIfLj2EEiiiiS1_IjLj3EES5_S5_S5_, .Lfunc_end16-_ZL33flash_attn_stream_k_fixup_generalILi128ELi1ELi1EEvPfPK15HIP_vector_typeIfLj2EEiiiiS1_IjLj3EES5_S5_S5_
                                        ; -- End function
	.section	.AMDGPU.csdata,"",@progbits
; Kernel info:
; codeLenInByte = 2780
; NumSgprs: 36
; NumVgprs: 22
; NumAgprs: 0
; TotalNumVgprs: 22
; ScratchSize: 0
; MemoryBound: 0
; FloatMode: 240
; IeeeMode: 1
; LDSByteSize: 0 bytes/workgroup (compile time only)
; SGPRBlocks: 4
; VGPRBlocks: 2
; NumSGPRsForWavesPerEU: 36
; NumVGPRsForWavesPerEU: 22
; AccumOffset: 24
; Occupancy: 8
; WaveLimiterHint : 0
; COMPUTE_PGM_RSRC2:SCRATCH_EN: 0
; COMPUTE_PGM_RSRC2:USER_SGPR: 6
; COMPUTE_PGM_RSRC2:TRAP_HANDLER: 0
; COMPUTE_PGM_RSRC2:TGID_X_EN: 1
; COMPUTE_PGM_RSRC2:TGID_Y_EN: 1
; COMPUTE_PGM_RSRC2:TGID_Z_EN: 1
; COMPUTE_PGM_RSRC2:TIDIG_COMP_CNT: 0
; COMPUTE_PGM_RSRC3_GFX90A:ACCUM_OFFSET: 5
; COMPUTE_PGM_RSRC3_GFX90A:TG_SPLIT: 0
	.section	.text._ZL26flash_attn_combine_resultsILi128EEvPKfPK15HIP_vector_typeIfLj2EEPfi,"axG",@progbits,_ZL26flash_attn_combine_resultsILi128EEvPKfPK15HIP_vector_typeIfLj2EEPfi,comdat
	.globl	_ZL26flash_attn_combine_resultsILi128EEvPKfPK15HIP_vector_typeIfLj2EEPfi ; -- Begin function _ZL26flash_attn_combine_resultsILi128EEvPKfPK15HIP_vector_typeIfLj2EEPfi
	.p2align	8
	.type	_ZL26flash_attn_combine_resultsILi128EEvPKfPK15HIP_vector_typeIfLj2EEPfi,@function
_ZL26flash_attn_combine_resultsILi128EEvPKfPK15HIP_vector_typeIfLj2EEPfi: ; @_ZL26flash_attn_combine_resultsILi128EEvPKfPK15HIP_vector_typeIfLj2EEPfi
; %bb.0:
	s_load_dwordx2 s[10:11], s[4:5], 0x20
	s_load_dword s17, s[4:5], 0x18
	s_load_dwordx4 s[0:3], s[4:5], 0x0
	s_load_dwordx2 s[14:15], s[4:5], 0x10
	s_waitcnt lgkmcnt(0)
	s_mul_i32 s4, s10, s8
	s_add_i32 s4, s4, s6
	s_mul_i32 s16, s4, s11
	s_add_i32 s16, s16, s7
	s_lshl_b32 s18, s17, 1
	s_mul_i32 s4, s16, s17
	v_cmp_gt_i32_e32 vcc, s18, v0
	s_and_saveexec_b64 s[6:7], vcc
	s_cbranch_execz .LBB17_13
; %bb.1:
	v_xad_u32 v1, v0, -1, s18
	s_movk_i32 s8, 0x7f
	s_ashr_i32 s5, s4, 31
	v_cmp_lt_u32_e32 vcc, s8, v1
	s_mov_b64 s[10:11], -1
	v_mov_b32_e32 v2, v0
	s_and_saveexec_b64 s[8:9], vcc
	s_cbranch_execz .LBB17_10
; %bb.2:
	v_lshrrev_b32_e32 v6, 7, v1
	s_lshl_b64 s[10:11], s[4:5], 3
	v_add_u32_e32 v2, -1, v6
	s_add_u32 s19, s2, s10
	v_or_b32_e32 v1, 0x80, v0
	v_lshrrev_b32_e32 v3, 1, v2
	s_addc_u32 s20, s3, s11
	v_add_u32_e32 v7, 1, v3
	v_cmp_lt_u32_e32 vcc, 13, v2
	v_mov_b32_e32 v4, 0
	v_pk_mov_b32 v[2:3], v[0:1], v[0:1] op_sel:[0,1]
	s_and_saveexec_b64 s[10:11], vcc
	s_cbranch_execz .LBB17_6
; %bb.3:
	v_and_b32_e32 v8, -8, v7
	s_mov_b32 s21, 0
	v_lshl_add_u32 v9, v0, 2, 0
	s_mov_b64 s[12:13], 0
	v_mov_b32_e32 v10, s20
	v_mov_b32_e32 v5, 0
	v_pk_mov_b32 v[2:3], v[0:1], v[0:1] op_sel:[0,1]
.LBB17_4:                               ; =>This Inner Loop Header: Depth=1
	v_mov_b32_e32 v4, v2
	v_lshlrev_b64 v[26:27], 2, v[4:5]
	v_add_u32_e32 v12, 0x100, v3
	v_mov_b32_e32 v13, v5
	v_add_co_u32_e32 v26, vcc, s19, v26
	v_lshlrev_b64 v[12:13], 2, v[12:13]
	v_addc_co_u32_e32 v27, vcc, v10, v27, vcc
	v_add_u32_e32 v14, 0x200, v3
	v_mov_b32_e32 v15, v5
	v_add_co_u32_e32 v12, vcc, s19, v12
	v_lshlrev_b64 v[14:15], 2, v[14:15]
	v_addc_co_u32_e32 v13, vcc, v10, v13, vcc
	;; [unrolled: 5-line block ×7, first 2 shown]
	v_mov_b32_e32 v4, v3
	v_add_co_u32_e32 v24, vcc, s19, v24
	v_lshlrev_b64 v[28:29], 2, v[4:5]
	v_addc_co_u32_e32 v25, vcc, v10, v25, vcc
	v_add_u32_e32 v4, 0x100, v2
	v_add_co_u32_e32 v28, vcc, s19, v28
	v_addc_co_u32_e32 v29, vcc, v10, v29, vcc
	global_load_dword v1, v[26:27], off
	v_lshlrev_b64 v[26:27], 2, v[4:5]
	v_add_u32_e32 v4, 0x200, v2
	v_add_co_u32_e32 v26, vcc, s19, v26
	v_addc_co_u32_e32 v27, vcc, v10, v27, vcc
	v_lshlrev_b64 v[30:31], 2, v[4:5]
	v_add_u32_e32 v4, 0x300, v2
	global_load_dword v11, v[28:29], off
	global_load_dword v32, v[26:27], off
	global_load_dword v33, v[12:13], off
	v_add_co_u32_e32 v12, vcc, s19, v30
	v_addc_co_u32_e32 v13, vcc, v10, v31, vcc
	v_lshlrev_b64 v[26:27], 2, v[4:5]
	v_add_u32_e32 v4, 0x400, v2
	v_add_co_u32_e32 v26, vcc, s19, v26
	v_addc_co_u32_e32 v27, vcc, v10, v27, vcc
	v_lshlrev_b64 v[28:29], 2, v[4:5]
	v_add_u32_e32 v4, 0x500, v2
	global_load_dword v30, v[12:13], off
	global_load_dword v31, v[14:15], off
	;; [unrolled: 1-line block ×4, first 2 shown]
	v_add_co_u32_e32 v12, vcc, s19, v28
	v_addc_co_u32_e32 v13, vcc, v10, v29, vcc
	v_lshlrev_b64 v[14:15], 2, v[4:5]
	v_add_u32_e32 v4, 0x600, v2
	v_add_co_u32_e32 v14, vcc, s19, v14
	v_addc_co_u32_e32 v15, vcc, v10, v15, vcc
	v_lshlrev_b64 v[16:17], 2, v[4:5]
	v_add_u32_e32 v4, 0x700, v2
	global_load_dword v26, v[12:13], off
	global_load_dword v27, v[18:19], off
	;; [unrolled: 1-line block ×4, first 2 shown]
	v_add_co_u32_e32 v12, vcc, s19, v16
	v_addc_co_u32_e32 v13, vcc, v10, v17, vcc
	v_lshlrev_b64 v[14:15], 2, v[4:5]
	v_add_co_u32_e32 v14, vcc, s19, v14
	v_addc_co_u32_e32 v15, vcc, v10, v15, vcc
	global_load_dword v16, v[12:13], off
	global_load_dword v17, v[22:23], off
	;; [unrolled: 1-line block ×4, first 2 shown]
	v_add_u32_e32 v8, -8, v8
	s_add_i32 s21, s21, 16
	v_cmp_eq_u32_e32 vcc, 0, v8
	v_add_u32_e32 v3, 0x800, v3
	v_mov_b32_e32 v4, s21
	s_or_b64 s[12:13], vcc, s[12:13]
	v_add_u32_e32 v2, 0x800, v2
	s_waitcnt vmcnt(14)
	ds_write2st64_b32 v9, v1, v11 offset1:2
	s_waitcnt vmcnt(12)
	ds_write2st64_b32 v9, v32, v33 offset0:4 offset1:6
	s_waitcnt vmcnt(10)
	ds_write2st64_b32 v9, v30, v31 offset0:8 offset1:10
	;; [unrolled: 2-line block ×7, first 2 shown]
	v_add_u32_e32 v9, 0x2000, v9
	s_andn2_b64 exec, exec, s[12:13]
	s_cbranch_execnz .LBB17_4
; %bb.5:
	s_or_b64 exec, exec, s[12:13]
.LBB17_6:
	s_or_b64 exec, exec, s[10:11]
	v_and_b32_e32 v1, 7, v7
	v_cmp_ne_u32_e32 vcc, 0, v1
	s_and_saveexec_b64 s[10:11], vcc
	s_cbranch_execz .LBB17_9
; %bb.7:
	v_lshlrev_b32_e32 v5, 2, v0
	v_lshl_or_b32 v4, v4, 9, v5
	v_add_u32_e32 v7, 0, v4
	s_mov_b64 s[12:13], 0
	v_mov_b32_e32 v8, s20
	v_mov_b32_e32 v5, 0
.LBB17_8:                               ; =>This Inner Loop Header: Depth=1
	v_mov_b32_e32 v4, v2
	v_lshlrev_b64 v[10:11], 2, v[4:5]
	v_mov_b32_e32 v4, v3
	v_add_co_u32_e32 v10, vcc, s19, v10
	v_addc_co_u32_e32 v11, vcc, v8, v11, vcc
	v_lshlrev_b64 v[12:13], 2, v[4:5]
	v_add_co_u32_e32 v12, vcc, s19, v12
	v_addc_co_u32_e32 v13, vcc, v8, v13, vcc
	global_load_dword v4, v[10:11], off
	global_load_dword v9, v[12:13], off
	v_add_u32_e32 v1, -1, v1
	v_cmp_eq_u32_e32 vcc, 0, v1
	v_add_u32_e32 v2, 0x100, v2
	v_add_u32_e32 v3, 0x100, v3
	s_or_b64 s[12:13], vcc, s[12:13]
	s_waitcnt vmcnt(0)
	ds_write2st64_b32 v7, v4, v9 offset1:2
	v_add_u32_e32 v7, 0x400, v7
	s_andn2_b64 exec, exec, s[12:13]
	s_cbranch_execnz .LBB17_8
.LBB17_9:
	s_or_b64 exec, exec, s[10:11]
	v_add_u32_e32 v1, 1, v6
	v_and_b32_e32 v3, 0x3fffffe, v1
	v_cmp_ne_u32_e32 vcc, v1, v3
	v_lshl_or_b32 v2, v3, 7, v0
	s_orn2_b64 s[10:11], vcc, exec
.LBB17_10:
	s_or_b64 exec, exec, s[8:9]
	s_and_b64 exec, exec, s[10:11]
	s_cbranch_execz .LBB17_13
; %bb.11:
	s_lshl_b64 s[8:9], s[4:5], 3
	v_mov_b32_e32 v3, 0
	s_add_u32 s2, s2, s8
	v_lshlrev_b64 v[4:5], 2, v[2:3]
	s_addc_u32 s3, s3, s9
	v_mov_b32_e32 v1, s3
	v_add_co_u32_e32 v4, vcc, s2, v4
	v_addc_co_u32_e32 v5, vcc, v1, v5, vcc
	v_lshl_add_u32 v1, v2, 2, 0
	s_mov_b64 s[2:3], 0
.LBB17_12:                              ; =>This Inner Loop Header: Depth=1
	global_load_dword v3, v[4:5], off
	v_add_co_u32_e32 v4, vcc, 0x200, v4
	v_add_u32_e32 v2, 0x80, v2
	v_addc_co_u32_e32 v5, vcc, 0, v5, vcc
	v_cmp_le_i32_e32 vcc, s18, v2
	s_or_b64 s[2:3], vcc, s[2:3]
	s_waitcnt vmcnt(0)
	ds_write_b32 v1, v3
	v_add_u32_e32 v1, 0x200, v1
	s_andn2_b64 exec, exec, s[2:3]
	s_cbranch_execnz .LBB17_12
.LBB17_13:
	s_or_b64 exec, exec, s[6:7]
	v_mov_b32_e32 v1, 0
	s_waitcnt lgkmcnt(0)
	s_barrier
	ds_read_b32 v1, v1
	s_cmp_lt_i32 s17, 2
	s_cbranch_scc1 .LBB17_21
; %bb.14:
	s_add_i32 s2, s17, -1
	s_add_i32 s3, s17, -2
	s_cmp_lt_u32 s3, 7
	s_cbranch_scc1 .LBB17_18
; %bb.15:
	s_mov_b32 s6, 0
	s_add_i32 s3, 0, 8
	s_and_b32 s5, s2, -8
.LBB17_16:                              ; =>This Inner Loop Header: Depth=1
	v_mov_b32_e32 v8, s3
	ds_read2_b32 v[2:3], v8 offset1:2
	ds_read2_b32 v[4:5], v8 offset0:4 offset1:6
	ds_read2_b32 v[6:7], v8 offset0:8 offset1:10
	;; [unrolled: 1-line block ×3, first 2 shown]
	s_mov_b32 s7, s6
	s_waitcnt lgkmcnt(3)
	v_max3_f32 v1, v1, v2, v3
	s_waitcnt lgkmcnt(2)
	v_max3_f32 v1, v1, v4, v5
	s_add_i32 s3, s3, 64
	s_add_i32 s6, s6, 8
	s_waitcnt lgkmcnt(1)
	v_max3_f32 v1, v1, v6, v7
	s_cmp_eq_u32 s5, s6
	s_waitcnt lgkmcnt(0)
	v_max3_f32 v1, v1, v8, v9
	s_cbranch_scc0 .LBB17_16
; %bb.17:
	s_add_i32 s3, s7, 9
	s_and_b32 s2, s2, 7
	s_cmp_eq_u32 s2, 0
	s_cbranch_scc0 .LBB17_19
	s_branch .LBB17_21
.LBB17_18:
	s_mov_b32 s3, 1
	s_and_b32 s2, s2, 7
	s_cmp_eq_u32 s2, 0
	s_cbranch_scc1 .LBB17_21
.LBB17_19:
	s_lshl_b32 s3, s3, 3
	s_add_i32 s3, s3, 0
.LBB17_20:                              ; =>This Inner Loop Header: Depth=1
	v_mov_b32_e32 v2, s3
	ds_read_b32 v2, v2
	s_waitcnt lgkmcnt(1)
	v_max_f32_e32 v1, v1, v1
	s_add_i32 s3, s3, 8
	s_add_i32 s2, s2, -1
	s_cmp_lg_u32 s2, 0
	s_waitcnt lgkmcnt(0)
	v_max_f32_e32 v2, v2, v2
	v_max_f32_e32 v1, v1, v2
	s_cbranch_scc1 .LBB17_20
.LBB17_21:
	s_cmp_lt_i32 s17, 1
	s_cbranch_scc1 .LBB17_26
; %bb.22:
	s_lshl_b32 s2, s4, 7
	s_ashr_i32 s3, s2, 31
	s_lshl_b64 s[2:3], s[2:3], 2
	s_add_u32 s18, s0, s2
	s_addc_u32 s19, s1, s3
	s_cmp_lt_u32 s17, 8
	v_mov_b32_e32 v6, 0
	s_cbranch_scc1 .LBB17_27
; %bb.23:
	s_and_b32 s20, s17, 0x7ffffff8
	v_or_b32_e32 v2, 0x380, v0
	s_mov_b32 s21, 0
	v_mov_b32_e32 v5, 0
	s_mov_b32 s22, 0x3fb8aa3b
	s_mov_b32 s23, 0xc2ce8ed0
	;; [unrolled: 1-line block ×3, first 2 shown]
	v_mov_b32_e32 v8, 0x7f800000
	v_mov_b32_e32 v9, s19
	s_mov_b32 s25, 0
	v_mov_b32_e32 v7, 0
	v_mov_b32_e32 v6, 0
.LBB17_24:                              ; =>This Inner Loop Header: Depth=1
	v_add_u32_e32 v4, 0xfffffc80, v2
	v_lshlrev_b64 v[26:27], 2, v[4:5]
	v_mov_b32_e32 v3, v5
	v_add_co_u32_e32 v26, vcc, s18, v26
	v_lshlrev_b64 v[28:29], 2, v[2:3]
	v_addc_co_u32_e32 v27, vcc, v9, v27, vcc
	v_add_u32_e32 v4, 0xfffffd00, v2
	v_add_co_u32_e32 v28, vcc, s18, v28
	v_mov_b32_e32 v22, s21
	v_lshlrev_b64 v[30:31], 2, v[4:5]
	v_addc_co_u32_e32 v29, vcc, v9, v29, vcc
	ds_read2_b64 v[10:13], v22 offset1:1
	ds_read2_b64 v[14:17], v22 offset0:2 offset1:3
	ds_read2_b64 v[18:21], v22 offset0:4 offset1:5
	;; [unrolled: 1-line block ×3, first 2 shown]
	v_add_u32_e32 v4, 0xfffffd80, v2
	global_load_dword v3, v[26:27], off
	v_add_co_u32_e32 v26, vcc, s18, v30
	v_addc_co_u32_e32 v27, vcc, v9, v31, vcc
	v_lshlrev_b64 v[30:31], 2, v[4:5]
	v_add_u32_e32 v4, 0xfffffe00, v2
	v_add_co_u32_e32 v30, vcc, s18, v30
	v_addc_co_u32_e32 v31, vcc, v9, v31, vcc
	v_lshlrev_b64 v[32:33], 2, v[4:5]
	v_add_u32_e32 v4, 0xfffffe80, v2
	global_load_dword v34, v[26:27], off
	global_load_dword v35, v[30:31], off
	v_add_co_u32_e32 v26, vcc, s18, v32
	v_addc_co_u32_e32 v27, vcc, v9, v33, vcc
	v_lshlrev_b64 v[30:31], 2, v[4:5]
	v_add_u32_e32 v4, 0xffffff00, v2
	v_add_co_u32_e32 v30, vcc, s18, v30
	v_addc_co_u32_e32 v31, vcc, v9, v31, vcc
	v_lshlrev_b64 v[32:33], 2, v[4:5]
	global_load_dword v36, v[26:27], off
	v_add_u32_e32 v4, 0xffffff80, v2
	global_load_dword v28, v[28:29], off
	v_add_co_u32_e32 v26, vcc, s18, v32
	v_addc_co_u32_e32 v27, vcc, v9, v33, vcc
	global_load_dword v42, v[30:31], off
	s_waitcnt lgkmcnt(3)
	v_sub_f32_e32 v12, v12, v1
	global_load_dword v26, v[26:27], off
	v_lshlrev_b64 v[30:31], 2, v[4:5]
	v_add_co_u32_e32 v30, vcc, s18, v30
	v_addc_co_u32_e32 v31, vcc, v9, v31, vcc
	global_load_dword v30, v[30:31], off
	s_waitcnt lgkmcnt(2)
	v_sub_f32_e32 v14, v14, v1
	v_sub_f32_e32 v10, v10, v1
	v_mul_f32_e32 v38, 0x3fb8aa3b, v12
	v_mul_f32_e32 v39, 0x3fb8aa3b, v14
	s_waitcnt lgkmcnt(1)
	v_sub_f32_e32 v18, v18, v1
	s_waitcnt lgkmcnt(0)
	v_sub_f32_e32 v22, v22, v1
	v_mul_f32_e32 v37, 0x3fb8aa3b, v10
	v_fma_f32 v45, v12, s22, -v38
	v_rndne_f32_e32 v46, v38
	v_fma_f32 v47, v14, s22, -v39
	v_rndne_f32_e32 v48, v39
	v_sub_f32_e32 v16, v16, v1
	v_sub_f32_e32 v20, v20, v1
	v_mul_f32_e32 v41, 0x3fb8aa3b, v18
	v_mul_f32_e32 v32, 0x3fb8aa3b, v22
	v_fma_f32 v33, v10, s22, -v37
	v_rndne_f32_e32 v44, v37
	v_fmac_f32_e32 v45, 0x32a5705f, v12
	v_sub_f32_e32 v38, v38, v46
	v_fmac_f32_e32 v47, 0x32a5705f, v14
	v_sub_f32_e32 v39, v39, v48
	v_mul_f32_e32 v40, 0x3fb8aa3b, v16
	v_mul_f32_e32 v43, 0x3fb8aa3b, v20
	v_fma_f32 v27, v18, s22, -v41
	v_rndne_f32_e32 v31, v41
	v_fmac_f32_e32 v33, 0x32a5705f, v10
	v_sub_f32_e32 v37, v37, v44
	v_add_f32_e32 v38, v38, v45
	v_fma_f32 v45, v22, s22, -v32
	v_add_f32_e32 v39, v39, v47
	v_rndne_f32_e32 v47, v32
	v_fma_f32 v49, v16, s22, -v40
	v_rndne_f32_e32 v50, v40
	v_fma_f32 v29, v20, s22, -v43
	v_add_f32_e32 v33, v37, v33
	v_rndne_f32_e32 v37, v43
	v_fmac_f32_e32 v27, 0x32a5705f, v18
	v_sub_f32_e32 v41, v41, v31
	v_fmac_f32_e32 v45, 0x32a5705f, v22
	v_sub_f32_e32 v32, v32, v47
	;; [unrolled: 2-line block ×3, first 2 shown]
	v_add_f32_e32 v27, v41, v27
	v_cvt_i32_f32_e32 v44, v44
	v_fmac_f32_e32 v29, 0x32a5705f, v20
	v_sub_f32_e32 v43, v43, v37
	v_add_f32_e32 v32, v32, v45
	v_exp_f32_e32 v33, v33
	v_add_f32_e32 v40, v40, v49
	v_cvt_i32_f32_e32 v46, v46
	v_cvt_i32_f32_e32 v31, v31
	;; [unrolled: 1-line block ×3, first 2 shown]
	v_add_f32_e32 v29, v43, v29
	v_exp_f32_e32 v38, v38
	v_exp_f32_e32 v27, v27
	;; [unrolled: 1-line block ×3, first 2 shown]
	v_sub_f32_e32 v24, v24, v1
	v_cvt_i32_f32_e32 v48, v48
	v_cvt_i32_f32_e32 v50, v50
	;; [unrolled: 1-line block ×3, first 2 shown]
	v_exp_f32_e32 v39, v39
	v_exp_f32_e32 v40, v40
	;; [unrolled: 1-line block ×3, first 2 shown]
	v_mul_f32_e32 v4, 0x3fb8aa3b, v24
	v_fma_f32 v49, v24, s22, -v4
	v_rndne_f32_e32 v41, v4
	v_ldexp_f32 v33, v33, v44
	v_cmp_ngt_f32_e64 s[12:13], s23, v10
	v_fmac_f32_e32 v49, 0x32a5705f, v24
	v_sub_f32_e32 v4, v4, v41
	v_ldexp_f32 v38, v38, v46
	v_cmp_ngt_f32_e32 vcc, s23, v12
	v_ldexp_f32 v27, v27, v31
	v_ldexp_f32 v31, v32, v47
	v_cndmask_b32_e64 v32, 0, v33, s[12:13]
	v_cmp_nlt_f32_e64 s[12:13], s24, v10
	v_add_f32_e32 v4, v4, v49
	v_ldexp_f32 v39, v39, v48
	v_cmp_ngt_f32_e64 s[0:1], s23, v14
	v_ldexp_f32 v40, v40, v50
	v_cmp_ngt_f32_e64 s[2:3], s23, v16
	v_cmp_ngt_f32_e64 s[4:5], s23, v18
	v_ldexp_f32 v29, v29, v37
	v_cmp_ngt_f32_e64 s[6:7], s23, v20
	v_cmp_ngt_f32_e64 s[8:9], s23, v22
	v_cndmask_b32_e32 v33, 0, v38, vcc
	v_cmp_nlt_f32_e32 vcc, s24, v12
	v_cndmask_b32_e64 v10, v8, v32, s[12:13]
	v_cvt_i32_f32_e32 v41, v41
	v_exp_f32_e32 v4, v4
	v_cndmask_b32_e64 v12, 0, v39, s[0:1]
	v_cmp_nlt_f32_e64 s[0:1], s24, v14
	v_cndmask_b32_e64 v14, 0, v40, s[2:3]
	v_cmp_nlt_f32_e64 s[2:3], s24, v16
	;; [unrolled: 2-line block ×5, first 2 shown]
	v_cndmask_b32_e32 v22, v8, v33, vcc
	v_fmac_f32_e32 v7, v10, v11
	s_waitcnt vmcnt(7)
	v_fmac_f32_e32 v6, v3, v10
	v_cndmask_b32_e64 v12, v8, v12, s[0:1]
	v_fmac_f32_e32 v7, v22, v13
	s_waitcnt vmcnt(6)
	v_fmac_f32_e32 v6, v34, v22
	v_cndmask_b32_e64 v14, v8, v14, s[2:3]
	;; [unrolled: 4-line block ×3, first 2 shown]
	v_fmac_f32_e32 v7, v14, v17
	s_waitcnt vmcnt(4)
	v_fmac_f32_e32 v6, v36, v14
	v_ldexp_f32 v4, v4, v41
	v_cmp_ngt_f32_e64 s[10:11], s23, v24
	v_cndmask_b32_e64 v18, v8, v18, s[6:7]
	v_fmac_f32_e32 v7, v16, v19
	s_waitcnt vmcnt(2)
	v_fmac_f32_e32 v6, v42, v16
	v_cndmask_b32_e64 v4, 0, v4, s[10:11]
	v_cmp_nlt_f32_e64 s[10:11], s24, v24
	v_cndmask_b32_e64 v20, v8, v20, s[8:9]
	v_fmac_f32_e32 v7, v18, v21
	s_waitcnt vmcnt(1)
	v_fmac_f32_e32 v6, v26, v18
	s_add_i32 s25, s25, 8
	s_add_i32 s21, s21, 64
	v_cndmask_b32_e64 v4, v8, v4, s[10:11]
	v_fmac_f32_e32 v7, v20, v23
	s_waitcnt vmcnt(0)
	v_fmac_f32_e32 v6, v30, v20
	s_cmp_eq_u32 s20, s25
	v_add_u32_e32 v2, 0x400, v2
	v_fmac_f32_e32 v7, v4, v25
	v_fmac_f32_e32 v6, v28, v4
	s_cbranch_scc0 .LBB17_24
; %bb.25:
	s_and_b32 s0, s17, 7
	s_cmp_eq_u32 s0, 0
	s_cbranch_scc0 .LBB17_28
	s_branch .LBB17_30
.LBB17_26:
	s_waitcnt lgkmcnt(0)
	v_mov_b32_e32 v1, 0x7fc00000
	s_branch .LBB17_31
.LBB17_27:
	s_mov_b32 s20, 0
	v_mov_b32_e32 v7, 0
	s_and_b32 s0, s17, 7
	s_cmp_eq_u32 s0, 0
	s_cbranch_scc1 .LBB17_30
.LBB17_28:
	s_lshl_b32 s1, s20, 3
	v_lshl_or_b32 v2, s20, 7, v0
	s_add_i32 s1, s1, 0
	s_mov_b32 s2, 0x3fb8aa3b
	s_mov_b32 s3, 0xc2ce8ed0
	;; [unrolled: 1-line block ×3, first 2 shown]
	v_mov_b32_e32 v4, 0x7f800000
	v_mov_b32_e32 v3, 0
	;; [unrolled: 1-line block ×3, first 2 shown]
.LBB17_29:                              ; =>This Inner Loop Header: Depth=1
	v_lshlrev_b64 v[8:9], 2, v[2:3]
	v_add_co_u32_e32 v8, vcc, s18, v8
	v_addc_co_u32_e32 v9, vcc, v5, v9, vcc
	global_load_dword v10, v[8:9], off
	v_mov_b32_e32 v8, s1
	ds_read_b64 v[8:9], v8
	s_add_i32 s1, s1, 8
	s_add_i32 s0, s0, -1
	v_add_u32_e32 v2, 0x80, v2
	s_cmp_lg_u32 s0, 0
	s_waitcnt lgkmcnt(0)
	v_sub_f32_e32 v8, v8, v1
	v_mul_f32_e32 v11, 0x3fb8aa3b, v8
	v_fma_f32 v12, v8, s2, -v11
	v_rndne_f32_e32 v13, v11
	v_fmac_f32_e32 v12, 0x32a5705f, v8
	v_sub_f32_e32 v11, v11, v13
	v_add_f32_e32 v11, v11, v12
	v_cvt_i32_f32_e32 v13, v13
	v_exp_f32_e32 v11, v11
	v_cmp_ngt_f32_e32 vcc, s3, v8
	v_ldexp_f32 v11, v11, v13
	v_cndmask_b32_e32 v11, 0, v11, vcc
	v_cmp_nlt_f32_e32 vcc, s4, v8
	v_cndmask_b32_e32 v8, v4, v11, vcc
	v_fmac_f32_e32 v7, v8, v9
	s_waitcnt vmcnt(0)
	v_fmac_f32_e32 v6, v10, v8
	s_cbranch_scc1 .LBB17_29
.LBB17_30:
	s_waitcnt lgkmcnt(0)
	v_div_scale_f32 v1, s[0:1], v7, v7, v6
	v_rcp_f32_e32 v2, v1
	v_div_scale_f32 v3, vcc, v6, v7, v6
	v_fma_f32 v4, -v1, v2, 1.0
	v_fmac_f32_e32 v2, v4, v2
	v_mul_f32_e32 v4, v3, v2
	v_fma_f32 v5, -v1, v4, v3
	v_fmac_f32_e32 v4, v5, v2
	v_fma_f32 v1, -v1, v4, v3
	v_div_fmas_f32 v1, v1, v2, v4
	v_div_fixup_f32 v1, v1, v7, v6
.LBB17_31:
	s_lshl_b32 s0, s16, 7
	s_ashr_i32 s1, s0, 31
	s_lshl_b64 s[0:1], s[0:1], 2
	s_add_u32 s0, s14, s0
	s_addc_u32 s1, s15, s1
	v_lshlrev_b32_e32 v0, 2, v0
	global_store_dword v0, v1, s[0:1]
	s_endpgm
	.section	.rodata,"a",@progbits
	.p2align	6, 0x0
	.amdhsa_kernel _ZL26flash_attn_combine_resultsILi128EEvPKfPK15HIP_vector_typeIfLj2EEPfi
		.amdhsa_group_segment_fixed_size 0
		.amdhsa_private_segment_fixed_size 0
		.amdhsa_kernarg_size 288
		.amdhsa_user_sgpr_count 6
		.amdhsa_user_sgpr_private_segment_buffer 1
		.amdhsa_user_sgpr_dispatch_ptr 0
		.amdhsa_user_sgpr_queue_ptr 0
		.amdhsa_user_sgpr_kernarg_segment_ptr 1
		.amdhsa_user_sgpr_dispatch_id 0
		.amdhsa_user_sgpr_flat_scratch_init 0
		.amdhsa_user_sgpr_kernarg_preload_length 0
		.amdhsa_user_sgpr_kernarg_preload_offset 0
		.amdhsa_user_sgpr_private_segment_size 0
		.amdhsa_uses_dynamic_stack 0
		.amdhsa_system_sgpr_private_segment_wavefront_offset 0
		.amdhsa_system_sgpr_workgroup_id_x 1
		.amdhsa_system_sgpr_workgroup_id_y 1
		.amdhsa_system_sgpr_workgroup_id_z 1
		.amdhsa_system_sgpr_workgroup_info 0
		.amdhsa_system_vgpr_workitem_id 0
		.amdhsa_next_free_vgpr 51
		.amdhsa_next_free_sgpr 26
		.amdhsa_accum_offset 52
		.amdhsa_reserve_vcc 1
		.amdhsa_reserve_flat_scratch 0
		.amdhsa_float_round_mode_32 0
		.amdhsa_float_round_mode_16_64 0
		.amdhsa_float_denorm_mode_32 3
		.amdhsa_float_denorm_mode_16_64 3
		.amdhsa_dx10_clamp 1
		.amdhsa_ieee_mode 1
		.amdhsa_fp16_overflow 0
		.amdhsa_tg_split 0
		.amdhsa_exception_fp_ieee_invalid_op 0
		.amdhsa_exception_fp_denorm_src 0
		.amdhsa_exception_fp_ieee_div_zero 0
		.amdhsa_exception_fp_ieee_overflow 0
		.amdhsa_exception_fp_ieee_underflow 0
		.amdhsa_exception_fp_ieee_inexact 0
		.amdhsa_exception_int_div_zero 0
	.end_amdhsa_kernel
	.section	.text._ZL26flash_attn_combine_resultsILi128EEvPKfPK15HIP_vector_typeIfLj2EEPfi,"axG",@progbits,_ZL26flash_attn_combine_resultsILi128EEvPKfPK15HIP_vector_typeIfLj2EEPfi,comdat
.Lfunc_end17:
	.size	_ZL26flash_attn_combine_resultsILi128EEvPKfPK15HIP_vector_typeIfLj2EEPfi, .Lfunc_end17-_ZL26flash_attn_combine_resultsILi128EEvPKfPK15HIP_vector_typeIfLj2EEPfi
                                        ; -- End function
	.section	.AMDGPU.csdata,"",@progbits
; Kernel info:
; codeLenInByte = 3048
; NumSgprs: 30
; NumVgprs: 51
; NumAgprs: 0
; TotalNumVgprs: 51
; ScratchSize: 0
; MemoryBound: 0
; FloatMode: 240
; IeeeMode: 1
; LDSByteSize: 0 bytes/workgroup (compile time only)
; SGPRBlocks: 3
; VGPRBlocks: 6
; NumSGPRsForWavesPerEU: 30
; NumVGPRsForWavesPerEU: 51
; AccumOffset: 52
; Occupancy: 8
; WaveLimiterHint : 0
; COMPUTE_PGM_RSRC2:SCRATCH_EN: 0
; COMPUTE_PGM_RSRC2:USER_SGPR: 6
; COMPUTE_PGM_RSRC2:TRAP_HANDLER: 0
; COMPUTE_PGM_RSRC2:TGID_X_EN: 1
; COMPUTE_PGM_RSRC2:TGID_Y_EN: 1
; COMPUTE_PGM_RSRC2:TGID_Z_EN: 1
; COMPUTE_PGM_RSRC2:TIDIG_COMP_CNT: 0
; COMPUTE_PGM_RSRC3_GFX90A:ACCUM_OFFSET: 12
; COMPUTE_PGM_RSRC3_GFX90A:TG_SPLIT: 0
	.section	.text._ZL18flash_attn_ext_vecILi128ELi1EL9ggml_type6ELS0_8ELb1EEvPKcS2_S2_S2_S2_PKiPfP15HIP_vector_typeIfLj2EEffffjfiS6_IjLj3EEiiiiiiiiiiiliiliiiiil,"axG",@progbits,_ZL18flash_attn_ext_vecILi128ELi1EL9ggml_type6ELS0_8ELb1EEvPKcS2_S2_S2_S2_PKiPfP15HIP_vector_typeIfLj2EEffffjfiS6_IjLj3EEiiiiiiiiiiiliiliiiiil,comdat
	.globl	_ZL18flash_attn_ext_vecILi128ELi1EL9ggml_type6ELS0_8ELb1EEvPKcS2_S2_S2_S2_PKiPfP15HIP_vector_typeIfLj2EEffffjfiS6_IjLj3EEiiiiiiiiiiiliiliiiiil ; -- Begin function _ZL18flash_attn_ext_vecILi128ELi1EL9ggml_type6ELS0_8ELb1EEvPKcS2_S2_S2_S2_PKiPfP15HIP_vector_typeIfLj2EEffffjfiS6_IjLj3EEiiiiiiiiiiiliiliiiiil
	.p2align	8
	.type	_ZL18flash_attn_ext_vecILi128ELi1EL9ggml_type6ELS0_8ELb1EEvPKcS2_S2_S2_S2_PKiPfP15HIP_vector_typeIfLj2EEffffjfiS6_IjLj3EEiiiiiiiiiiiliiliiiiil,@function
_ZL18flash_attn_ext_vecILi128ELi1EL9ggml_type6ELS0_8ELb1EEvPKcS2_S2_S2_S2_PKiPfP15HIP_vector_typeIfLj2EEffffjfiS6_IjLj3EEiiiiiiiiiiiliiliiiiil: ; @_ZL18flash_attn_ext_vecILi128ELi1EL9ggml_type6ELS0_8ELb1EEvPKcS2_S2_S2_S2_PKiPfP15HIP_vector_typeIfLj2EEffffjfiS6_IjLj3EEiiiiiiiiiiiliiliiiiil
; %bb.0:
	s_load_dwordx2 s[34:35], s[4:5], 0x64
	s_load_dwordx2 s[42:43], s[4:5], 0x80
	;; [unrolled: 1-line block ×3, first 2 shown]
	s_load_dwordx4 s[12:15], s[4:5], 0x40
	s_load_dwordx2 s[44:45], s[4:5], 0x50
	v_mov_b32_e32 v172, 1.0
	s_waitcnt lgkmcnt(0)
	v_cvt_f32_u32_e32 v1, s35
	s_sub_i32 s0, 0, s35
	v_rcp_iflag_f32_e32 v1, v1
	v_mul_f32_e32 v1, 0x4f7ffffe, v1
	v_cvt_u32_f32_e32 v1, v1
	v_readfirstlane_b32 s1, v1
	s_mul_i32 s0, s0, s1
	s_mul_hi_u32 s0, s1, s0
	s_add_i32 s1, s1, s0
	s_mul_hi_u32 s0, s8, s1
	s_mul_i32 s1, s0, s35
	s_sub_i32 s1, s8, s1
	s_add_i32 s2, s0, 1
	s_sub_i32 s3, s1, s35
	s_cmp_ge_u32 s1, s35
	s_cselect_b32 s0, s2, s0
	s_cselect_b32 s1, s3, s1
	s_add_i32 s2, s0, 1
	s_cmp_ge_u32 s1, s35
	s_cselect_b32 s33, s2, s0
	s_abs_i32 s0, s43
	v_cvt_f32_u32_e32 v1, s0
	s_mul_i32 s3, s33, s35
	s_sub_i32 s9, 0, s0
	s_sub_i32 s40, s8, s3
	v_rcp_iflag_f32_e32 v1, v1
	s_abs_i32 s2, s35
	s_xor_b32 s1, s35, s43
	s_ashr_i32 s1, s1, 31
	v_mul_f32_e32 v1, 0x4f7ffffe, v1
	v_cvt_u32_f32_e32 v1, v1
	v_readfirstlane_b32 s3, v1
	s_mul_i32 s9, s9, s3
	s_mul_hi_u32 s8, s3, s9
	s_add_i32 s3, s3, s8
	s_mul_hi_u32 s3, s2, s3
	s_mul_i32 s8, s3, s0
	s_sub_i32 s2, s2, s8
	s_add_i32 s9, s3, 1
	s_sub_i32 s8, s2, s0
	s_cmp_ge_u32 s2, s0
	s_cselect_b32 s3, s9, s3
	s_cselect_b32 s2, s8, s2
	s_add_i32 s8, s3, 1
	s_cmp_ge_u32 s2, s0
	s_cselect_b32 s0, s8, s3
	s_xor_b32 s0, s0, s1
	s_sub_i32 s36, s0, s1
	s_abs_i32 s10, s10
	s_abs_i32 s47, s36
	v_cvt_f32_u32_e32 v1, s10
	v_cvt_f32_u32_e32 v2, s47
	s_sub_i32 s0, 0, s10
	s_sub_i32 s1, 0, s47
	v_rcp_iflag_f32_e32 v1, v1
	v_rcp_iflag_f32_e32 v2, v2
	s_abs_i32 s48, s40
	s_abs_i32 s46, s33
	v_mul_f32_e32 v1, 0x4f7ffffe, v1
	v_mul_f32_e32 v2, 0x4f7ffffe, v2
	v_cvt_u32_f32_e32 v1, v1
	v_cvt_u32_f32_e32 v2, v2
	v_readfirstlane_b32 s17, v1
	v_readfirstlane_b32 s16, v2
	s_mul_i32 s0, s0, s17
	s_mul_i32 s1, s1, s16
	s_mul_hi_u32 s1, s16, s1
	s_mul_hi_u32 s0, s17, s0
	s_add_i32 s16, s16, s1
	s_add_i32 s17, s17, s0
	v_cmp_le_f32_e64 s[0:1], s13, 0
	s_and_b64 vcc, exec, s[0:1]
	s_cbranch_vccnz .LBB18_2
; %bb.1:
	s_sub_i32 s0, s40, s44
	s_lshl_b32 s0, s0, 1
	s_add_i32 s2, s40, 1
	s_or_b32 s3, s0, 1
	s_cmp_lt_u32 s40, s44
	s_cselect_b64 vcc, -1, 0
	s_and_b64 s[0:1], vcc, exec
	v_mov_b32_e32 v1, s15
	v_mov_b32_e32 v2, s14
	s_cselect_b32 s0, s2, s3
	v_cndmask_b32_e32 v18, v1, v2, vcc
	v_cvt_f32_i32_e32 v1, s0
	v_cmp_neq_f32_e32 vcc, 1.0, v18
	s_mov_b32 s0, 0x3f2aaaab
	s_movk_i32 s2, 0x204
	v_cndmask_b32_e32 v19, 1.0, v1, vcc
	v_cmp_eq_f32_e32 vcc, 0, v19
	v_cndmask_b32_e64 v20, |v18|, 1.0, vcc
	v_frexp_mant_f32_e32 v1, v20
	v_cmp_gt_f32_e64 s[0:1], s0, v1
	v_cndmask_b32_e64 v2, 1.0, 2.0, s[0:1]
	v_mul_f32_e32 v1, v1, v2
	v_add_f32_e32 v2, 1.0, v1
	v_rcp_f32_e32 v10, v2
	v_add_f32_e32 v3, -1.0, v2
	v_sub_f32_e32 v5, v1, v3
	v_add_f32_e32 v3, -1.0, v1
	v_mul_f32_e32 v1, v3, v10
	v_mul_f32_e32 v4, v2, v1
	v_fma_f32 v6, v1, v2, -v4
	v_fmac_f32_e32 v6, v1, v5
	v_add_f32_e32 v2, v4, v6
	v_sub_f32_e32 v5, v3, v2
	v_pk_add_f32 v[8:9], v[2:3], v[4:5] neg_lo:[0,1] neg_hi:[0,1]
	v_mov_b32_e32 v7, v2
	v_pk_add_f32 v[2:3], v[8:9], v[6:7] neg_lo:[0,1] neg_hi:[0,1]
	v_add_f32_e32 v2, v2, v3
	v_add_f32_e32 v2, v5, v2
	v_mul_f32_e32 v3, v10, v2
	v_add_f32_e32 v2, v1, v3
	v_sub_f32_e32 v1, v2, v1
	v_sub_f32_e32 v1, v3, v1
	v_mul_f32_e32 v3, v2, v2
	v_fma_f32 v5, v2, v2, -v3
	v_add_f32_e32 v4, v1, v1
	v_fmac_f32_e32 v5, v2, v4
	v_add_f32_e32 v4, v3, v5
	v_mov_b32_e32 v6, 0x3e91f4c4
	v_fmac_f32_e32 v6, 0x3e76c4e1, v4
	v_mov_b32_e32 v7, 0x3ecccdef
	v_fmac_f32_e32 v7, v4, v6
	v_sub_f32_e32 v3, v4, v3
	v_sub_f32_e32 v12, v5, v3
	v_mul_f32_e32 v3, v4, v7
	v_fma_f32 v5, v4, v7, -v3
	v_fmac_f32_e32 v5, v12, v7
	v_add_f32_e32 v6, v3, v5
	v_add_f32_e32 v7, 0x3f2aaaaa, v6
	v_sub_f32_e32 v3, v6, v3
	v_sub_f32_e32 v3, v5, v3
	v_add_f32_e32 v5, 0xbf2aaaaa, v7
	v_add_f32_e32 v3, 0x31739010, v3
	v_sub_f32_e32 v5, v6, v5
	v_pk_mul_f32 v[8:9], v[2:3], v[4:5]
	v_fma_f32 v6, v4, v2, -v8
	v_pk_add_f32 v[10:11], v[2:3], v[4:5]
	v_fmac_f32_e32 v6, v4, v1
	v_mov_b32_e32 v9, v11
	v_fmac_f32_e32 v6, v12, v2
	v_pk_add_f32 v[4:5], v[8:9], v[6:7]
	v_sub_f32_e32 v3, v4, v8
	v_sub_f32_e32 v3, v6, v3
	;; [unrolled: 1-line block ×3, first 2 shown]
	v_add_f32_e32 v9, v11, v6
	v_mov_b32_e32 v6, v5
	v_pk_mul_f32 v[6:7], v[4:5], v[6:7]
	v_cvt_f64_f32_e32 v[10:11], v20
	v_frexp_exp_i32_f64_e32 v7, v[10:11]
	v_subbrev_co_u32_e64 v7, s[0:1], 0, v7, s[0:1]
	v_cvt_f32_i32_e32 v7, v7
	v_fma_f32 v8, v4, v5, -v6
	v_fmac_f32_e32 v8, v4, v9
	s_mov_b32 s0, 0x3f317218
	v_mul_f32_e32 v4, 0x3f317218, v7
	v_fmac_f32_e32 v8, v3, v5
	v_fma_f32 v10, v7, s0, -v4
	v_fmac_f32_e32 v10, 0xb102e308, v7
	v_ldexp_f32 v11, v2, 1
	v_add_f32_e32 v5, v6, v8
	v_pk_add_f32 v[2:3], v[4:5], v[10:11]
	v_mov_b32_e32 v12, v5
	v_mov_b32_e32 v13, v3
	;; [unrolled: 1-line block ×3, first 2 shown]
	v_pk_add_f32 v[6:7], v[12:13], v[6:7] neg_lo:[0,1] neg_hi:[0,1]
	v_mov_b32_e32 v9, v5
	v_ldexp_f32 v1, v1, 1
	v_pk_add_f32 v[6:7], v[8:9], v[6:7] neg_lo:[0,1] neg_hi:[0,1]
	v_add_f32_e32 v1, v1, v6
	v_add_f32_e32 v5, v1, v7
	v_pk_add_f32 v[6:7], v[2:3], v[4:5] neg_lo:[0,1] neg_hi:[0,1]
	v_pk_add_f32 v[8:9], v[2:3], v[4:5]
	v_mov_b32_e32 v12, v6
	v_mov_b32_e32 v13, v9
	;; [unrolled: 1-line block ×3, first 2 shown]
	v_pk_add_f32 v[12:13], v[10:11], v[12:13]
	v_mov_b32_e32 v4, v13
	v_pk_add_f32 v[14:15], v[4:5], v[2:3] neg_lo:[0,1] neg_hi:[0,1]
	v_mov_b32_e32 v1, v14
	v_mov_b32_e32 v12, v9
	v_mov_b32_e32 v2, v3
	v_mov_b32_e32 v3, v14
	v_pk_add_f32 v[6:7], v[10:11], v[6:7] neg_lo:[0,1] neg_hi:[0,1]
	v_pk_add_f32 v[16:17], v[8:9], v[0:1] neg_lo:[0,1] neg_hi:[0,1]
	;; [unrolled: 1-line block ×3, first 2 shown]
	v_mov_b32_e32 v10, v5
	v_pk_add_f32 v[2:3], v[10:11], v[2:3] neg_lo:[0,1] neg_hi:[0,1]
	v_mov_b32_e32 v16, v6
	v_pk_add_f32 v[8:9], v[16:17], v[2:3]
	v_mov_b32_e32 v10, v9
	v_pk_add_f32 v[10:11], v[8:9], v[10:11]
	v_pk_add_f32 v[4:5], v[4:5], v[10:11]
	v_mov_b32_e32 v7, v13
	v_mov_b32_e32 v9, v4
	v_pk_add_f32 v[12:13], v[8:9], v[6:7] neg_lo:[0,1] neg_hi:[0,1]
	v_mov_b32_e32 v3, v10
	v_sub_f32_e32 v1, v8, v12
	v_pk_add_f32 v[2:3], v[2:3], v[12:13] neg_lo:[0,1] neg_hi:[0,1]
	v_sub_f32_e32 v1, v6, v1
	v_add_f32_e32 v1, v2, v1
	v_add_f32_e32 v1, v1, v3
	;; [unrolled: 1-line block ×3, first 2 shown]
	v_sub_f32_e32 v3, v2, v4
	v_sub_f32_e32 v1, v1, v3
	v_mul_f32_e32 v3, v19, v2
	v_fma_f32 v2, v19, v2, -v3
	v_fmac_f32_e32 v2, v19, v1
	v_add_f32_e32 v1, v3, v2
	v_cmp_class_f32_e64 s[0:1], v3, s2
	v_sub_f32_e32 v4, v1, v3
	v_cndmask_b32_e64 v1, v1, v3, s[0:1]
	s_mov_b32 s8, 0x42b17218
	v_mov_b32_e32 v3, 0x37000000
	v_cmp_eq_f32_e64 s[0:1], s8, v1
	v_cndmask_b32_e64 v3, 0, v3, s[0:1]
	v_sub_f32_e32 v2, v2, v4
	v_sub_f32_e32 v4, v1, v3
	s_mov_b32 s0, 0x3fb8aa3b
	v_mul_f32_e32 v5, 0x3fb8aa3b, v4
	v_fma_f32 v6, v4, s0, -v5
	v_rndne_f32_e32 v7, v5
	v_fmac_f32_e32 v6, 0x32a5705f, v4
	v_sub_f32_e32 v5, v5, v7
	v_add_f32_e32 v5, v5, v6
	v_exp_f32_e32 v5, v5
	v_cvt_i32_f32_e32 v6, v7
	s_mov_b32 s3, 0x7f800000
	v_cmp_neq_f32_e64 s[0:1], |v1|, s3
	v_cndmask_b32_e64 v1, 0, v2, s[0:1]
	s_mov_b32 s0, 0xc2ce8ed0
	v_ldexp_f32 v2, v5, v6
	v_cmp_ngt_f32_e64 s[0:1], s0, v4
	v_add_f32_e32 v1, v3, v1
	v_cndmask_b32_e64 v2, 0, v2, s[0:1]
	v_mov_b32_e32 v3, 0x7f800000
	v_cmp_nlt_f32_e64 s[0:1], s8, v4
	v_cndmask_b32_e64 v2, v3, v2, s[0:1]
	v_fma_f32 v1, v2, v1, v2
	v_cmp_class_f32_e64 s[0:1], v2, s2
	v_trunc_f32_e32 v4, v19
	v_cndmask_b32_e64 v1, v1, v2, s[0:1]
	v_cndmask_b32_e64 v2, v18, 1.0, vcc
	v_cmp_eq_f32_e32 vcc, v4, v19
	v_mul_f32_e32 v4, 0.5, v19
	v_trunc_f32_e32 v6, v4
	v_cmp_neq_f32_e64 s[0:1], v6, v4
	s_and_b64 s[0:1], vcc, s[0:1]
	v_cndmask_b32_e64 v4, 1.0, v2, s[0:1]
	s_brev_b32 s14, -2
	v_mov_b32_e32 v5, 0x7fc00000
	v_bfi_b32 v1, s14, v1, v4
	v_cndmask_b32_e32 v4, v5, v1, vcc
	v_cmp_gt_f32_e32 vcc, 0, v2
	v_cndmask_b32_e32 v1, v1, v4, vcc
	v_cmp_eq_f32_e32 vcc, s3, v20
	v_cmp_eq_f32_e64 s[2:3], 0, v2
	v_cmp_gt_f32_e64 s[8:9], 0, v19
	s_xor_b64 s[8:9], s[8:9], s[2:3]
	v_cndmask_b32_e64 v3, v3, 0, s[8:9]
	v_cndmask_b32_e64 v4, 0, v2, s[0:1]
	v_bfi_b32 v3, s14, v3, v4
	s_or_b64 vcc, vcc, s[2:3]
	v_cndmask_b32_e32 v1, v1, v3, vcc
	v_cmp_o_f32_e32 vcc, v2, v2
	v_cndmask_b32_e32 v172, v5, v1, vcc
.LBB18_2:
	s_mul_hi_u32 s15, s48, s16
	s_mul_hi_u32 s14, s46, s17
	s_load_dwordx16 s[16:31], s[4:5], 0x0
	v_bfe_u32 v168, v0, 10, 10
	v_and_b32_e32 v169, 0x3ff, v0
	v_cmp_eq_u32_e64 s[0:1], 0, v168
	v_mbcnt_lo_u32_b32 v170, -1, 0
	s_and_saveexec_b64 s[2:3], s[0:1]
	s_cbranch_execz .LBB18_7
; %bb.3:
	s_load_dwordx4 s[52:55], s[4:5], 0x70
	v_lshlrev_b32_e32 v0, 4, v169
	v_mbcnt_hi_u32_b32 v4, -1, v170
	v_and_b32_e32 v5, 0x60, v4
	v_xor_b32_e32 v6, 4, v4
	s_waitcnt lgkmcnt(0)
	s_mul_i32 s8, s33, s54
	s_mul_i32 s37, s6, s52
	;; [unrolled: 1-line block ×3, first 2 shown]
	s_add_i32 s8, s8, s37
	s_add_i32 s8, s8, s9
	s_ashr_i32 s9, s8, 31
	s_add_u32 s8, s16, s8
	s_addc_u32 s9, s17, s9
	global_load_dwordx4 v[0:3], v0, s[8:9]
	v_add_u32_e32 v9, 32, v5
	v_xor_b32_e32 v7, 2, v4
	v_cmp_lt_i32_e32 vcc, v6, v9
	v_cndmask_b32_e32 v5, v4, v6, vcc
	v_cmp_lt_i32_e32 vcc, v7, v9
	v_cndmask_b32_e32 v6, v4, v7, vcc
	v_lshlrev_b32_e32 v10, 2, v6
	v_lshlrev_b32_e32 v7, 2, v5
	v_xor_b32_e32 v8, 1, v4
	v_cmp_lt_i32_e32 vcc, v8, v9
	v_cndmask_b32_e32 v4, v4, v8, vcc
	v_lshlrev_b32_e32 v4, 2, v4
	s_waitcnt vmcnt(0)
	v_mul_f32_e32 v6, s12, v0
	v_mov_b32_e32 v0, v3
	v_pk_mul_f32 v[0:1], v[0:1], s[12:13] op_sel_hi:[1,0]
	v_max_f32_e64 v3, |v6|, |v6|
	v_mul_f32_e32 v5, s12, v2
	v_max_f32_e64 v3, v3, |v1|
	v_max3_f32 v3, v3, |v5|, |v0|
	ds_bpermute_b32 v11, v7, v3
	v_add_f32_e32 v12, v1, v6
	v_fmac_f32_e32 v12, s12, v2
	v_add_f32_e32 v2, v0, v12
	ds_bpermute_b32 v7, v7, v2
	s_waitcnt lgkmcnt(1)
	v_max_f32_e32 v11, v11, v11
	v_max_f32_e32 v3, v3, v11
	ds_bpermute_b32 v11, v10, v3
	s_mov_b32 s12, 0x42fe0000
	s_waitcnt lgkmcnt(1)
	v_add_f32_e32 v2, v2, v7
	ds_bpermute_b32 v8, v10, v2
	s_waitcnt lgkmcnt(1)
	v_max_f32_e32 v7, v11, v11
	v_max_f32_e32 v9, v3, v7
	ds_bpermute_b32 v10, v4, v9
	s_waitcnt lgkmcnt(1)
	v_add_f32_e32 v3, v2, v8
	ds_bpermute_b32 v4, v4, v3
	v_mov_b32_e32 v7, 0
	s_waitcnt lgkmcnt(1)
	v_max_f32_e32 v2, v10, v10
	v_max_f32_e32 v2, v9, v2
	v_div_scale_f32 v8, s[8:9], s12, s12, v2
	v_rcp_f32_e32 v9, v8
	v_div_scale_f32 v10, vcc, v2, s12, v2
	v_fma_f32 v11, -v8, v9, 1.0
	v_fmac_f32_e32 v9, v11, v9
	v_mul_f32_e32 v11, v10, v9
	v_fma_f32 v12, -v8, v11, v10
	v_fmac_f32_e32 v11, v12, v9
	v_fma_f32 v8, -v8, v11, v10
	v_div_fmas_f32 v8, v8, v9, v11
	v_div_fixup_f32 v2, v8, s12, v2
	v_cmp_neq_f32_e32 vcc, 0, v2
	s_and_saveexec_b64 s[8:9], vcc
	s_cbranch_execz .LBB18_5
; %bb.4:
	v_div_scale_f32 v7, s[12:13], v2, v2, v6
	v_rcp_f32_e32 v8, v7
	v_div_scale_f32 v9, vcc, v6, v2, v6
	s_brev_b32 s16, -2
	v_fma_f32 v10, -v7, v8, 1.0
	v_fmac_f32_e32 v8, v10, v8
	v_mul_f32_e32 v10, v9, v8
	v_fma_f32 v11, -v7, v10, v9
	v_fmac_f32_e32 v10, v11, v8
	v_fma_f32 v7, -v7, v10, v9
	v_div_fmas_f32 v7, v7, v8, v10
	v_div_fixup_f32 v6, v7, v2, v6
	v_trunc_f32_e32 v7, v6
	v_sub_f32_e32 v8, v6, v7
	v_cmp_ge_f32_e64 s[12:13], |v8|, 0.5
	v_cndmask_b32_e64 v8, 0, 1.0, s[12:13]
	v_div_scale_f32 v9, s[12:13], v2, v2, v0
	v_rcp_f32_e32 v10, v9
	v_bfi_b32 v6, s16, v8, v6
	v_add_f32_e32 v6, v7, v6
	v_cvt_i32_f32_e32 v6, v6
	v_fma_f32 v7, -v9, v10, 1.0
	v_fmac_f32_e32 v10, v7, v10
	v_div_scale_f32 v7, vcc, v0, v2, v0
	v_mul_f32_e32 v8, v7, v10
	v_fma_f32 v11, -v9, v8, v7
	v_fmac_f32_e32 v8, v11, v10
	v_div_scale_f32 v11, s[12:13], v2, v2, v1
	v_rcp_f32_e32 v12, v11
	v_fma_f32 v7, -v9, v8, v7
	v_div_fmas_f32 v7, v7, v10, v8
	v_div_fixup_f32 v0, v7, v2, v0
	v_fma_f32 v8, -v11, v12, 1.0
	v_fmac_f32_e32 v12, v8, v12
	v_div_scale_f32 v8, vcc, v1, v2, v1
	v_mul_f32_e32 v9, v8, v12
	v_fma_f32 v10, -v11, v9, v8
	v_fmac_f32_e32 v9, v10, v12
	v_div_scale_f32 v10, s[12:13], v2, v2, v5
	v_rcp_f32_e32 v13, v10
	v_fma_f32 v8, -v11, v9, v8
	v_div_fmas_f32 v8, v8, v12, v9
	v_div_fixup_f32 v1, v8, v2, v1
	v_fma_f32 v9, -v10, v13, 1.0
	v_fmac_f32_e32 v13, v9, v13
	v_div_scale_f32 v9, vcc, v5, v2, v5
	v_mul_f32_e32 v11, v9, v13
	v_fma_f32 v12, -v10, v11, v9
	v_fmac_f32_e32 v11, v12, v13
	v_fma_f32 v9, -v10, v11, v9
	v_div_fmas_f32 v9, v9, v13, v11
	v_div_fixup_f32 v5, v9, v2, v5
	v_trunc_f32_e32 v9, v5
	v_sub_f32_e32 v10, v5, v9
	v_trunc_f32_e32 v7, v1
	v_cmp_ge_f32_e64 s[12:13], |v10|, 0.5
	v_sub_f32_e32 v8, v1, v7
	v_cndmask_b32_e64 v10, 0, 1.0, s[12:13]
	v_cmp_ge_f32_e64 s[12:13], |v8|, 0.5
	v_cndmask_b32_e64 v8, 0, 1.0, s[12:13]
	v_bfi_b32 v1, s16, v8, v1
	v_add_f32_e32 v1, v7, v1
	v_trunc_f32_e32 v7, v0
	v_sub_f32_e32 v8, v0, v7
	v_bfi_b32 v5, s16, v10, v5
	v_cmp_ge_f32_e64 s[12:13], |v8|, 0.5
	v_add_f32_e32 v5, v9, v5
	v_cndmask_b32_e64 v8, 0, 1.0, s[12:13]
	v_cvt_i32_f32_e32 v5, v5
	v_bfi_b32 v0, s16, v8, v0
	v_add_f32_e32 v0, v7, v0
	v_cvt_i32_f32_e32 v1, v1
	v_cvt_i32_f32_e32 v0, v0
	v_and_b32_e32 v5, 0xff, v5
	v_lshlrev_b32_e32 v5, 16, v5
	v_mov_b32_e32 v7, 8
	v_lshlrev_b32_sdwa v1, v7, v1 dst_sel:DWORD dst_unused:UNUSED_PAD src0_sel:DWORD src1_sel:BYTE_0
	v_lshl_or_b32 v0, v0, 24, v5
	v_and_b32_e32 v5, 0xff, v6
	v_or3_b32 v7, v0, v1, v5
.LBB18_5:
	s_or_b64 exec, exec, s[8:9]
	v_and_b32_e32 v1, 7, v169
	v_lshlrev_b32_e32 v0, 2, v169
	v_cmp_eq_u32_e32 vcc, 0, v1
	ds_write_b32 v0, v7
	s_and_b64 exec, exec, vcc
	s_cbranch_execz .LBB18_7
; %bb.6:
	s_waitcnt lgkmcnt(1)
	v_add_f32_e32 v3, v3, v4
	ds_write_b64 v169, v[2:3] offset:128
.LBB18_7:
	s_or_b64 exec, exec, s[2:3]
	v_and_b32_e32 v22, 3, v169
	v_lshlrev_b32_e32 v12, 2, v22
	v_mov_b32_e32 v181, 0
	s_waitcnt lgkmcnt(0)
	s_barrier
	ds_read2_b32 v[14:15], v12 offset1:4
	ds_read2_b32 v[16:17], v12 offset0:8 offset1:12
	ds_read_b128 v[0:3], v181 offset:128
	ds_read_b128 v[4:7], v181 offset:144
	ds_read2_b32 v[18:19], v12 offset0:16 offset1:20
	ds_read2_b32 v[20:21], v12 offset0:24 offset1:28
	s_ashr_i32 s41, s40, 31
	s_ashr_i32 s2, s36, 31
	;; [unrolled: 1-line block ×3, first 2 shown]
	s_cmp_eq_u64 s[26:27], 0
	s_waitcnt lgkmcnt(0)
	s_barrier
	s_cbranch_scc1 .LBB18_9
; %bb.8:
	s_load_dword s3, s[4:5], 0xd0
	s_mov_b32 s9, 0
	s_waitcnt lgkmcnt(0)
	s_mul_i32 s3, s3, s33
	s_add_i32 s8, s3, s6
	s_lshl_b64 s[8:9], s[8:9], 2
	s_add_u32 s8, s26, s8
	s_addc_u32 s9, s27, s9
	s_load_dword s42, s[8:9], 0x0
.LBB18_9:
	v_lshlrev_b32_e32 v8, 5, v168
	v_add_u32_e32 v171, v8, v169
	s_lshl_b32 s16, s7, 7
	s_mov_b32 s43, 0
	s_waitcnt lgkmcnt(0)
	s_cmp_ge_i32 s16, s42
	v_mov_b32_e32 v189, 0xfeffffff
	v_mov_b32_e32 v188, 0
	v_lshlrev_b32_e32 v173, 1, v171
	v_lshlrev_b32_e32 v174, 2, v169
	v_mov_b32_e32 v13, 0
	s_cbranch_scc1 .LBB18_37
; %bb.10:
	s_load_dwordx4 s[36:39], s[4:5], 0x98
	s_load_dwordx2 s[12:13], s[4:5], 0x8c
	s_xor_b32 s2, s41, s2
	s_mul_i32 s14, s14, s10
	s_mul_i32 s59, s6, s11
	s_waitcnt lgkmcnt(0)
	s_mul_i32 s37, s33, s37
	s_mul_i32 s8, s44, s36
	s_mul_hi_u32 s3, s33, s36
	s_add_i32 s37, s37, s8
	s_add_i32 s51, s37, s3
	s_mul_i32 s3, s15, s47
	s_sub_i32 s3, s48, s3
	s_add_i32 s8, s15, 1
	s_sub_i32 s9, s3, s47
	s_cmp_ge_u32 s3, s47
	s_cselect_b32 s8, s8, s15
	s_cselect_b32 s3, s9, s3
	s_add_i32 s9, s8, 1
	s_cmp_ge_u32 s3, s47
	s_cselect_b32 s3, s9, s8
	s_xor_b32 s3, s3, s2
	s_sub_i32 s53, s3, s2
	s_mul_i32 s13, s53, s13
	s_mul_i32 s53, s53, s39
	s_sub_i32 s2, s46, s14
	s_ashr_i32 s52, s13, 31
	s_ashr_i32 s54, s53, 31
	s_sub_i32 s3, s2, s10
	s_cmp_ge_u32 s2, s10
	s_cselect_b32 s2, s3, s2
	s_sub_i32 s3, s2, s10
	s_cmp_ge_u32 s2, s10
	s_cselect_b32 s8, s3, s2
	s_load_dwordx2 s[48:49], s[4:5], 0xa8
	s_load_dwordx2 s[2:3], s[4:5], 0xc8
	s_xor_b32 s8, s8, s44
	s_sub_i32 s8, s8, s44
	s_load_dword s10, s[4:5], 0xd4
	s_ashr_i32 s9, s8, 31
	s_waitcnt lgkmcnt(0)
	s_mul_i32 s3, s8, s3
	s_mul_hi_u32 s14, s8, s2
	s_add_i32 s3, s14, s3
	s_mul_i32 s9, s9, s2
	s_add_i32 s39, s3, s9
	s_ashr_i32 s62, s59, 31
	v_and_b32_e32 v9, 0x7c, v169
	v_mbcnt_hi_u32_b32 v13, -1, v170
	v_add_u32_e32 v11, v8, v9
	v_and_b32_e32 v9, 0x7c, v13
	s_cmp_lg_u64 s[22:23], 0
	v_add_u32_e32 v10, 4, v9
	v_xor_b32_e32 v9, 2, v13
	s_cselect_b64 s[26:27], -1, 0
	s_lshl_b32 s46, s10, 7
	v_cmp_lt_i32_e32 vcc, v9, v10
	v_xor_b32_e32 v23, 1, v13
	s_add_u32 s55, s18, s13
	s_mul_i32 s50, s33, s36
	v_cndmask_b32_e32 v9, v13, v9, vcc
	v_cmp_lt_i32_e32 vcc, v23, v10
	s_addc_u32 s56, s19, s52
	s_mov_b32 s17, s43
	v_cndmask_b32_e32 v10, v13, v23, vcc
	v_and_b32_e32 v23, 0x60, v13
	s_add_u32 s57, s55, s50
	s_mul_i32 s47, s8, s2
	v_add_u32_e32 v23, 32, v23
	v_cmp_eq_u32_e64 s[2:3], 3, v22
	v_cmp_eq_u32_e64 s[14:15], 0, v22
	;; [unrolled: 1-line block ×4, first 2 shown]
	v_xor_b32_e32 v22, 4, v13
	s_addc_u32 s58, s56, s51
	s_lshl_b64 s[60:61], s[16:17], 1
	v_cmp_lt_i32_e32 vcc, v22, v23
	s_add_u32 s17, s47, s60
	v_cndmask_b32_e32 v24, v13, v22, vcc
	v_xor_b32_e32 v22, 8, v13
	s_addc_u32 s39, s39, s61
	v_cmp_lt_i32_e32 vcc, v22, v23
	s_add_u32 s22, s22, s59
	v_cndmask_b32_e32 v25, v13, v22, vcc
	v_xor_b32_e32 v22, 16, v13
	s_addc_u32 s23, s23, s62
	v_cmp_lt_i32_e32 vcc, v22, v23
	s_add_u32 s17, s22, s17
	v_cndmask_b32_e32 v26, v13, v22, vcc
	v_lshlrev_b32_e32 v22, 1, v11
	s_addc_u32 s22, s23, s39
	v_mov_b32_e32 v23, s22
	v_add_co_u32_e32 v22, vcc, s17, v22
	v_bfe_u32 v27, v169, 3, 27
	v_addc_co_u32_e32 v23, vcc, 0, v23, vcc
	v_add_co_u32_e32 v22, vcc, 6, v22
	v_mul_hi_u32_u24_e32 v29, 34, v27
	v_mul_u32_u24_e32 v28, 34, v27
	s_mul_i32 s17, s33, s49
	s_mul_i32 s44, s44, s48
	v_mov_b32_e32 v27, s48
	v_mul_lo_u32 v13, v8, s38
	v_addc_co_u32_e32 v23, vcc, 0, v23, vcc
	s_add_i32 s17, s17, s44
	v_mad_u64_u32 v[32:33], s[22:23], s33, v27, v[28:29]
	v_ashrrev_i32_e32 v31, 31, v13
	v_add_u32_e32 v27, s17, v33
	v_add_co_u32_e32 v28, vcc, v32, v13
	v_and_b32_e32 v30, 28, v174
	v_addc_co_u32_e32 v29, vcc, v27, v31, vcc
	v_add_co_u32_e32 v36, vcc, v32, v30
	v_addc_co_u32_e32 v37, vcc, 0, v27, vcc
	v_add_co_u32_e32 v30, vcc, v36, v13
	v_addc_co_u32_e32 v31, vcc, v37, v31, vcc
	v_add_u32_e32 v34, s38, v13
	v_mov_b32_e32 v33, s54
	v_add_co_u32_e32 v13, vcc, s53, v32
	v_addc_co_u32_e32 v27, vcc, v27, v33, vcc
	v_ashrrev_i32_e32 v35, 31, v34
	v_add_co_u32_e32 v32, vcc, v13, v34
	v_addc_co_u32_e32 v33, vcc, v27, v35, vcc
	v_mov_b32_e32 v40, s54
	v_add_co_u32_e32 v36, vcc, s53, v36
	v_addc_co_u32_e32 v37, vcc, v37, v40, vcc
	v_add_u32_e32 v38, s38, v34
	v_add_co_u32_e32 v34, vcc, v36, v34
	v_addc_co_u32_e32 v35, vcc, v37, v35, vcc
	v_ashrrev_i32_e32 v39, 31, v38
	v_add_co_u32_e32 v40, vcc, v13, v38
	v_addc_co_u32_e32 v41, vcc, v27, v39, vcc
	v_add_co_u32_e32 v42, vcc, v36, v38
	v_add_u32_e32 v46, s38, v38
	v_addc_co_u32_e32 v43, vcc, v37, v39, vcc
	v_ashrrev_i32_e32 v47, 31, v46
	v_add_co_u32_e32 v44, vcc, v13, v46
	v_addc_co_u32_e32 v45, vcc, v27, v47, vcc
	v_add_u32_e32 v50, s38, v46
	v_add_co_u32_e32 v46, vcc, v36, v46
	v_addc_co_u32_e32 v47, vcc, v37, v47, vcc
	v_ashrrev_i32_e32 v51, 31, v50
	v_add_co_u32_e32 v48, vcc, v13, v50
	v_addc_co_u32_e32 v49, vcc, v27, v51, vcc
	v_add_u32_e32 v54, s38, v50
	v_add_co_u32_e32 v50, vcc, v36, v50
	v_addc_co_u32_e32 v51, vcc, v37, v51, vcc
	v_ashrrev_i32_e32 v55, 31, v54
	v_add_co_u32_e32 v52, vcc, v13, v54
	v_addc_co_u32_e32 v53, vcc, v27, v55, vcc
	v_add_co_u32_e32 v58, vcc, v36, v54
	v_add_u32_e32 v56, s38, v54
	v_addc_co_u32_e32 v59, vcc, v37, v55, vcc
	v_ashrrev_i32_e32 v57, 31, v56
	v_add_co_u32_e32 v60, vcc, v13, v56
	v_addc_co_u32_e32 v61, vcc, v27, v57, vcc
	v_add_co_u32_e32 v62, vcc, v36, v56
	v_add_u32_e32 v66, s38, v56
	v_addc_co_u32_e32 v63, vcc, v37, v57, vcc
	v_ashrrev_i32_e32 v67, 31, v66
	v_add_co_u32_e32 v64, vcc, v13, v66
	v_addc_co_u32_e32 v65, vcc, v27, v67, vcc
	v_add_u32_e32 v70, s38, v66
	v_add_co_u32_e32 v66, vcc, v36, v66
	v_addc_co_u32_e32 v67, vcc, v37, v67, vcc
	v_ashrrev_i32_e32 v71, 31, v70
	v_add_co_u32_e32 v68, vcc, v13, v70
	v_addc_co_u32_e32 v69, vcc, v27, v71, vcc
	v_add_u32_e32 v38, s38, v70
	v_add_co_u32_e32 v70, vcc, v36, v70
	v_addc_co_u32_e32 v71, vcc, v37, v71, vcc
	v_ashrrev_i32_e32 v39, 31, v38
	v_add_co_u32_e32 v74, vcc, v13, v38
	v_addc_co_u32_e32 v75, vcc, v27, v39, vcc
	v_add_co_u32_e32 v76, vcc, v36, v38
	v_add_u32_e32 v54, s38, v38
	v_addc_co_u32_e32 v77, vcc, v37, v39, vcc
	v_ashrrev_i32_e32 v38, 31, v54
	v_add_co_u32_e32 v78, vcc, v13, v54
	v_addc_co_u32_e32 v79, vcc, v27, v38, vcc
	v_add_co_u32_e32 v82, vcc, v36, v54
	v_addc_co_u32_e32 v83, vcc, v37, v38, vcc
	v_add_u32_e32 v38, 31, v8
	v_mul_lo_u32 v38, s38, v38
	v_add_u32_e32 v39, s38, v54
	v_ashrrev_i32_e32 v54, 31, v38
	v_add_co_u32_e32 v86, vcc, v36, v38
	v_addc_co_u32_e32 v87, vcc, v37, v54, vcc
	v_add_co_u32_e32 v88, vcc, v13, v38
	v_add_u32_e32 v38, 30, v8
	v_addc_co_u32_e32 v89, vcc, v27, v54, vcc
	v_mul_lo_u32 v38, s38, v38
	v_ashrrev_i32_e32 v54, 31, v38
	v_add_co_u32_e32 v90, vcc, v36, v38
	v_addc_co_u32_e32 v91, vcc, v37, v54, vcc
	v_add_co_u32_e32 v92, vcc, v13, v38
	v_add_u32_e32 v38, 29, v8
	v_addc_co_u32_e32 v93, vcc, v27, v54, vcc
	v_mul_lo_u32 v38, s38, v38
	v_ashrrev_i32_e32 v54, 31, v38
	v_add_co_u32_e32 v94, vcc, v36, v38
	v_addc_co_u32_e32 v95, vcc, v37, v54, vcc
	v_add_co_u32_e32 v96, vcc, v13, v38
	v_add_u32_e32 v38, 28, v8
	v_addc_co_u32_e32 v97, vcc, v27, v54, vcc
	v_mul_lo_u32 v38, s38, v38
	v_ashrrev_i32_e32 v54, 31, v38
	v_add_co_u32_e32 v98, vcc, v36, v38
	v_addc_co_u32_e32 v99, vcc, v37, v54, vcc
	v_add_co_u32_e32 v100, vcc, v13, v38
	v_add_u32_e32 v38, 27, v8
	v_addc_co_u32_e32 v101, vcc, v27, v54, vcc
	v_mul_lo_u32 v38, s38, v38
	v_ashrrev_i32_e32 v54, 31, v38
	v_add_co_u32_e32 v102, vcc, v36, v38
	v_addc_co_u32_e32 v103, vcc, v37, v54, vcc
	v_add_co_u32_e32 v104, vcc, v13, v38
	v_add_u32_e32 v38, 26, v8
	v_addc_co_u32_e32 v105, vcc, v27, v54, vcc
	v_mul_lo_u32 v38, s38, v38
	v_ashrrev_i32_e32 v54, 31, v38
	v_add_co_u32_e32 v106, vcc, v36, v38
	v_addc_co_u32_e32 v107, vcc, v37, v54, vcc
	v_add_co_u32_e32 v108, vcc, v13, v38
	v_add_u32_e32 v38, 25, v8
	v_addc_co_u32_e32 v109, vcc, v27, v54, vcc
	v_mul_lo_u32 v38, s38, v38
	v_ashrrev_i32_e32 v54, 31, v38
	v_add_co_u32_e32 v110, vcc, v36, v38
	v_addc_co_u32_e32 v111, vcc, v37, v54, vcc
	v_add_co_u32_e32 v112, vcc, v13, v38
	v_add_u32_e32 v38, 24, v8
	v_addc_co_u32_e32 v113, vcc, v27, v54, vcc
	v_mul_lo_u32 v38, s38, v38
	v_ashrrev_i32_e32 v54, 31, v38
	v_add_co_u32_e32 v114, vcc, v36, v38
	v_addc_co_u32_e32 v115, vcc, v37, v54, vcc
	v_add_co_u32_e32 v116, vcc, v13, v38
	v_add_u32_e32 v38, 23, v8
	v_addc_co_u32_e32 v117, vcc, v27, v54, vcc
	v_mul_lo_u32 v38, s38, v38
	v_ashrrev_i32_e32 v54, 31, v38
	v_add_co_u32_e32 v118, vcc, v36, v38
	v_addc_co_u32_e32 v119, vcc, v37, v54, vcc
	v_add_co_u32_e32 v120, vcc, v13, v38
	v_add_u32_e32 v38, 22, v8
	v_addc_co_u32_e32 v121, vcc, v27, v54, vcc
	v_mul_lo_u32 v38, s38, v38
	v_ashrrev_i32_e32 v54, 31, v38
	v_add_co_u32_e32 v122, vcc, v36, v38
	v_addc_co_u32_e32 v123, vcc, v37, v54, vcc
	v_add_co_u32_e32 v124, vcc, v13, v38
	v_add_u32_e32 v38, 21, v8
	v_addc_co_u32_e32 v125, vcc, v27, v54, vcc
	v_mul_lo_u32 v38, s38, v38
	v_ashrrev_i32_e32 v54, 31, v38
	v_add_co_u32_e32 v126, vcc, v36, v38
	v_addc_co_u32_e32 v127, vcc, v37, v54, vcc
	v_add_co_u32_e32 v128, vcc, v13, v38
	v_add_u32_e32 v38, 20, v8
	v_addc_co_u32_e32 v129, vcc, v27, v54, vcc
	v_mul_lo_u32 v38, s38, v38
	v_ashrrev_i32_e32 v136, 31, v38
	v_add_co_u32_e32 v137, vcc, v36, v38
	v_add_u32_e32 v56, s38, v39
	v_addc_co_u32_e32 v138, vcc, v37, v136, vcc
	v_add_u32_e32 v54, 19, v8
	v_add_u32_e32 v57, s38, v56
	v_add_co_u32_e32 v139, vcc, v13, v38
	v_mul_lo_u32 v54, s38, v54
	v_add_u32_e32 v72, s38, v57
	v_addc_co_u32_e32 v136, vcc, v27, v136, vcc
	v_ashrrev_i32_e32 v55, 31, v54
	v_add_u32_e32 v73, s38, v72
	v_add_co_u32_e32 v140, vcc, v36, v54
	v_add_u32_e32 v80, s38, v73
	v_addc_co_u32_e32 v141, vcc, v37, v55, vcc
	v_add_u32_e32 v81, s38, v80
	v_add_co_u32_e32 v142, vcc, v13, v54
	v_add_u32_e32 v84, s38, v81
	v_addc_co_u32_e32 v143, vcc, v27, v55, vcc
	v_ashrrev_i32_e32 v85, 31, v84
	v_add_co_u32_e32 v144, vcc, v36, v84
	v_addc_co_u32_e32 v145, vcc, v37, v85, vcc
	v_add_co_u32_e32 v146, vcc, v13, v84
	v_addc_co_u32_e32 v147, vcc, v27, v85, vcc
	v_ashrrev_i32_e32 v130, 31, v81
	v_add_co_u32_e32 v148, vcc, v36, v81
	v_addc_co_u32_e32 v149, vcc, v37, v130, vcc
	v_add_co_u32_e32 v150, vcc, v13, v81
	;; [unrolled: 5-line block ×6, first 2 shown]
	v_addc_co_u32_e32 v167, vcc, v27, v134, vcc
	v_ashrrev_i32_e32 v38, 31, v39
	v_add_co_u32_e32 v84, vcc, v13, v39
	v_addc_co_u32_e32 v85, vcc, v27, v38, vcc
	v_ashrrev_i32_e32 v135, 31, v56
	v_add_co_u32_e32 v181, vcc, v13, v56
	v_addc_co_u32_e32 v182, vcc, v27, v135, vcc
	v_add_co_u32_e32 v183, vcc, v36, v56
	v_addc_co_u32_e32 v184, vcc, v37, v135, vcc
	v_mul_lo_u32 v11, v11, s12
	v_add_co_u32_e32 v185, vcc, v36, v39
	v_add_u32_e32 v56, s12, v11
	v_addc_co_u32_e32 v186, vcc, v37, v38, vcc
	v_mov_b32_e32 v13, 0
	v_add_u32_e32 v38, s12, v56
	v_mov_b32_e32 v36, s36
	v_add_u32_e32 v27, s12, v38
	v_mad_u64_u32 v[54:55], s[22:23], s33, v36, v[12:13]
	v_add_u32_e32 v55, s37, v55
	v_lshlrev_b32_e32 v175, 2, v9
	v_lshlrev_b32_e32 v180, 1, v8
	v_ashrrev_i32_e32 v8, 31, v27
	v_add_co_u32_e32 v9, vcc, v54, v27
	v_lshlrev_b32_e32 v176, 2, v10
	v_addc_co_u32_e32 v10, vcc, v55, v8, vcc
	s_mov_b32 s47, s43
	v_lshlrev_b32_e32 v177, 2, v24
	v_lshlrev_b32_e32 v178, 2, v25
	v_mov_b32_e32 v25, s56
	v_add_co_u32_e32 v24, vcc, s55, v9
	v_addc_co_u32_e32 v25, vcc, v25, v10, vcc
	s_lshl_b64 s[22:23], s[46:47], 1
	s_mul_i32 s36, s16, s12
	s_mul_i32 s39, s46, s12
	v_lshlrev_b32_e32 v179, 2, v26
	v_mov_b32_e32 v9, s58
	v_add_co_u32_e32 v26, vcc, s57, v27
	s_add_u32 s12, s20, s53
	v_addc_co_u32_e32 v27, vcc, v9, v8, vcc
	s_addc_u32 s47, s21, s54
	v_mov_b32_e32 v8, s47
	v_add_co_u32_e32 v28, vcc, s12, v28
	v_addc_co_u32_e32 v29, vcc, v8, v29, vcc
	v_add_co_u32_e32 v30, vcc, s12, v30
	v_addc_co_u32_e32 v31, vcc, v8, v31, vcc
	v_mov_b32_e32 v8, s21
	v_add_co_u32_e32 v32, vcc, s20, v32
	v_addc_co_u32_e32 v33, vcc, v8, v33, vcc
	v_add_co_u32_e32 v34, vcc, s20, v34
	v_addc_co_u32_e32 v35, vcc, v8, v35, vcc
	v_ashrrev_i32_e32 v8, 31, v38
	v_add_co_u32_e32 v9, vcc, v54, v38
	v_addc_co_u32_e32 v10, vcc, v55, v8, vcc
	v_mov_b32_e32 v37, s56
	v_add_co_u32_e32 v36, vcc, s55, v9
	v_addc_co_u32_e32 v37, vcc, v37, v10, vcc
	v_mov_b32_e32 v9, s58
	v_add_co_u32_e32 v38, vcc, s57, v38
	v_addc_co_u32_e32 v39, vcc, v9, v8, vcc
	v_mov_b32_e32 v8, s21
	v_add_co_u32_e32 v40, vcc, s20, v40
	v_addc_co_u32_e32 v41, vcc, v8, v41, vcc
	v_add_co_u32_e32 v42, vcc, s20, v42
	v_addc_co_u32_e32 v43, vcc, v8, v43, vcc
	;; [unrolled: 2-line block ×7, first 2 shown]
	v_mov_b32_e32 v8, s52
	v_add_co_u32_e32 v9, vcc, s13, v54
	v_addc_co_u32_e32 v8, vcc, v55, v8, vcc
	v_ashrrev_i32_e32 v10, 31, v56
	v_add_co_u32_e32 v54, vcc, v54, v56
	v_addc_co_u32_e32 v55, vcc, v55, v10, vcc
	v_mov_b32_e32 v57, s56
	v_add_co_u32_e32 v54, vcc, s55, v54
	v_addc_co_u32_e32 v55, vcc, v57, v55, vcc
	v_mov_b32_e32 v57, s58
	;; [unrolled: 3-line block ×3, first 2 shown]
	v_add_co_u32_e32 v58, vcc, s20, v58
	v_addc_co_u32_e32 v59, vcc, v10, v59, vcc
	v_add_co_u32_e32 v60, vcc, s20, v60
	v_addc_co_u32_e32 v61, vcc, v10, v61, vcc
	;; [unrolled: 2-line block ×7, first 2 shown]
	v_ashrrev_i32_e32 v10, 31, v11
	v_add_co_u32_e32 v9, vcc, v9, v11
	v_addc_co_u32_e32 v8, vcc, v8, v10, vcc
	v_mov_b32_e32 v73, s19
	v_add_co_u32_e32 v72, vcc, s18, v9
	v_addc_co_u32_e32 v73, vcc, v73, v8, vcc
	v_mov_b32_e32 v8, s21
	v_add_co_u32_e32 v74, vcc, s20, v74
	v_addc_co_u32_e32 v75, vcc, v8, v75, vcc
	v_add_co_u32_e32 v76, vcc, s20, v76
	s_add_u32 s12, s50, s13
	v_addc_co_u32_e32 v77, vcc, v8, v77, vcc
	s_addc_u32 s13, s51, s52
	v_add_co_u32_e32 v78, vcc, s20, v78
	s_add_u32 s12, s18, s12
	v_addc_co_u32_e32 v79, vcc, v8, v79, vcc
	s_addc_u32 s13, s19, s13
	v_mov_b32_e32 v8, s13
	v_add_co_u32_e32 v80, vcc, s12, v11
	v_addc_co_u32_e32 v81, vcc, v8, v10, vcc
	v_mov_b32_e32 v8, s21
	v_add_co_u32_e32 v82, vcc, s20, v82
	v_addc_co_u32_e32 v83, vcc, v8, v83, vcc
	v_add_co_u32_e32 v84, vcc, s20, v84
	v_addc_co_u32_e32 v85, vcc, v8, v85, vcc
	;; [unrolled: 2-line block ×42, first 2 shown]
	v_add_co_u32_e32 v166, vcc, s20, v185
	s_mul_i32 s17, s16, s38
	s_mov_b32 s37, s43
	s_mov_b32 s44, s43
	s_mul_i32 s38, s46, s38
	s_mov_b32 s48, s43
	v_addc_co_u32_e32 v167, vcc, v8, v186, vcc
	s_mov_b32 s20, 0x1000706
	s_mov_b32 s21, 0x3f200000
	;; [unrolled: 1-line block ×5, first 2 shown]
	s_brev_b32 s51, -2
	v_add_f32_e32 v1, v1, v1
	v_or_b32_e32 v182, 16, v12
	v_add_f32_e32 v3, v3, v3
	v_add_f32_e32 v5, v5, v5
	;; [unrolled: 1-line block ×3, first 2 shown]
	v_mov_b32_e32 v8, 0xfeffffff
	v_mov_b32_e32 v183, 0xbd5c1c4e
	;; [unrolled: 1-line block ×7, first 2 shown]
                                        ; implicit-def: $vgpr187
.LBB18_11:                              ; =>This Inner Loop Header: Depth=1
	v_mov_b32_e32 v9, s37
	v_add_co_u32_e32 v10, vcc, s36, v80
	v_addc_co_u32_e32 v11, vcc, v81, v9, vcc
	v_add_co_u32_e32 v190, vcc, s36, v72
	v_addc_co_u32_e32 v191, vcc, v73, v9, vcc
	global_load_dword v9, v[10:11], off
	global_load_ushort v189, v[10:11], off offset:4
	global_load_dword v192, v[190:191], off offset:6
	global_load_dword v193, v[10:11], off offset:22
	global_load_ushort v194, v[10:11], off offset:26
	global_load_dword v195, v[190:191], off offset:28
	global_load_dword v196, v[10:11], off offset:44
	global_load_ushort v197, v[10:11], off offset:48
	global_load_dword v198, v[190:191], off offset:50
	s_nop 0
	global_load_dword v190, v[190:191], off offset:72
	s_nop 0
	;; [unrolled: 2-line block ×3, first 2 shown]
	global_load_ushort v10, v[10:11], off offset:70
	v_mov_b32_e32 v199, 0
	v_mov_b32_e32 v200, 0
	v_mov_b32_e32 v201, 0
	v_mov_b32_e32 v202, 0
	s_waitcnt vmcnt(10)
	v_perm_b32 v11, v9, v189, s20
	v_ashrrev_i32_e32 v205, v12, v11
	v_ashrrev_i32_e32 v11, v182, v11
	s_waitcnt vmcnt(7)
	v_perm_b32 v194, v193, v194, s20
	v_lshlrev_b32_e32 v208, 4, v205
	v_lshlrev_b32_e32 v209, 11, v205
	;; [unrolled: 1-line block ×4, first 2 shown]
	v_and_b32_e32 v189, 0xf0f0f0f, v192
	v_lshrrev_b32_e32 v192, 4, v192
	v_ashrrev_i32_e32 v206, v12, v194
	v_lshlrev_b32_e32 v211, 4, v11
	v_lshlrev_b32_e32 v212, 11, v11
	;; [unrolled: 1-line block ×4, first 2 shown]
	v_and_b32_e32 v210, 0x100000, v210
	v_and_b32_e32 v205, 0x10000000, v205
	;; [unrolled: 1-line block ×3, first 2 shown]
	v_lshlrev_b32_e32 v214, 4, v206
	v_lshlrev_b32_e32 v215, 11, v206
	;; [unrolled: 1-line block ×4, first 2 shown]
	v_and_b32_e32 v208, 16, v208
	v_and_b32_e32 v209, 0x1000, v209
	v_and_b32_e32 v213, 0x100000, v213
	v_and_b32_e32 v11, 0x10000000, v11
	v_or3_b32 v189, v205, v189, v210
	s_waitcnt vmcnt(6)
	v_and_b32_e32 v203, 0xf0f0f0f, v195
	v_and_b32_e32 v211, 16, v211
	;; [unrolled: 1-line block ×5, first 2 shown]
	v_or3_b32 v11, v11, v192, v213
	v_or3_b32 v189, v189, v208, v209
	v_and_b32_e32 v214, 16, v214
	v_and_b32_e32 v215, 0x1000, v215
	v_or3_b32 v192, v206, v203, v216
	v_or3_b32 v11, v11, v211, v212
	v_dot4c_i32_i8_e32 v199, v189, v14
	v_or3_b32 v192, v192, v214, v215
	v_dot4c_i32_i8_e32 v200, v11, v15
	v_dot4c_i32_i8_e32 v201, v192, v16
	v_cvt_f32_i32_e32 v11, v199
	s_waitcnt vmcnt(4)
	v_perm_b32 v197, v196, v197, s20
	v_cvt_f32_i32_e32 v189, v200
	v_cvt_f32_i32_e32 v192, v201
	v_fma_f32 v11, v0, v11, -v1
	v_fma_mix_f32 v11, v11, v9, 0 op_sel_hi:[0,1,0]
	v_fma_f32 v189, v0, v189, -v1
	v_ashrrev_i32_e32 v207, v12, v197
	v_fma_f32 v192, v2, v192, -v3
	v_fma_mix_f32 v9, v189, v9, v11 op_sel_hi:[0,1,0]
	v_fma_mix_f32 v9, v192, v193, v9 op_sel_hi:[0,1,0]
	v_lshlrev_b32_e32 v189, 18, v207
	v_lshlrev_b32_e32 v192, 25, v207
	s_waitcnt vmcnt(3)
	v_and_b32_e32 v204, 0xf0f0f0f, v198
	v_lshlrev_b32_e32 v220, 4, v207
	v_lshlrev_b32_e32 v11, 11, v207
	v_and_b32_e32 v189, 0x100000, v189
	v_and_b32_e32 v192, 0x10000000, v192
	v_ashrrev_i32_e32 v194, v182, v194
	v_and_b32_e32 v220, 16, v220
	v_and_b32_e32 v11, 0x1000, v11
	v_or3_b32 v189, v192, v204, v189
	v_lshrrev_b32_e32 v195, 4, v195
	v_lshlrev_b32_e32 v217, 4, v194
	v_lshlrev_b32_e32 v218, 11, v194
	;; [unrolled: 1-line block ×4, first 2 shown]
	v_or3_b32 v11, v189, v220, v11
	v_mov_b32_e32 v189, 0
	v_and_b32_e32 v195, 0xf0f0f0f, v195
	v_and_b32_e32 v219, 0x100000, v219
	;; [unrolled: 1-line block ×3, first 2 shown]
	v_dot4c_i32_i8_e32 v189, v11, v18
	v_ashrrev_i32_e32 v192, v182, v197
	v_and_b32_e32 v217, 16, v217
	v_and_b32_e32 v218, 0x1000, v218
	v_or3_b32 v194, v194, v195, v219
	v_cvt_f32_i32_e32 v11, v189
	v_lshrrev_b32_e32 v189, 4, v198
	v_lshlrev_b32_e32 v195, 4, v192
	v_lshlrev_b32_e32 v197, 11, v192
	;; [unrolled: 1-line block ×4, first 2 shown]
	v_or3_b32 v194, v194, v217, v218
	v_and_b32_e32 v189, 0xf0f0f0f, v189
	v_and_b32_e32 v198, 0x100000, v198
	v_and_b32_e32 v192, 0x10000000, v192
	v_dot4c_i32_i8_e32 v202, v194, v17
	v_and_b32_e32 v195, 16, v195
	v_and_b32_e32 v197, 0x1000, v197
	v_or3_b32 v189, v192, v189, v198
	v_cvt_f32_i32_e32 v194, v202
	v_or3_b32 v189, v189, v195, v197
	v_mov_b32_e32 v192, 0
	v_dot4c_i32_i8_e32 v192, v189, v19
	v_fma_f32 v194, v2, v194, -v3
	v_fma_mix_f32 v9, v194, v193, v9 op_sel_hi:[0,1,0]
	v_fma_f32 v11, v4, v11, -v5
	v_cvt_f32_i32_e32 v189, v192
	s_waitcnt vmcnt(0)
	v_perm_b32 v10, v191, v10, s20
	v_fma_mix_f32 v9, v11, v196, v9 op_sel_hi:[0,1,0]
	v_and_b32_e32 v193, 0xf0f0f0f, v190
	v_fma_f32 v11, v4, v189, -v5
	v_ashrrev_i32_e32 v189, v12, v10
	v_lshlrev_b32_e32 v192, 4, v189
	v_lshlrev_b32_e32 v194, 11, v189
	;; [unrolled: 1-line block ×4, first 2 shown]
	v_and_b32_e32 v195, 0x100000, v195
	v_and_b32_e32 v189, 0x10000000, v189
	;; [unrolled: 1-line block ×4, first 2 shown]
	v_or3_b32 v189, v189, v193, v195
	v_or3_b32 v189, v189, v192, v194
	v_mov_b32_e32 v192, 0
	v_dot4c_i32_i8_e32 v192, v189, v20
	v_ashrrev_i32_e32 v10, v182, v10
	v_lshrrev_b32_e32 v190, 4, v190
	v_lshlrev_b32_e32 v193, 11, v10
	v_cvt_f32_i32_e32 v189, v192
	v_lshlrev_b32_e32 v192, 4, v10
	v_lshlrev_b32_e32 v194, 18, v10
	;; [unrolled: 1-line block ×3, first 2 shown]
	v_and_b32_e32 v190, 0xf0f0f0f, v190
	v_and_b32_e32 v194, 0x100000, v194
	;; [unrolled: 1-line block ×5, first 2 shown]
	v_or3_b32 v10, v10, v190, v194
	v_or3_b32 v10, v10, v192, v193
	v_mov_b32_e32 v190, 0
	v_dot4c_i32_i8_e32 v190, v10, v21
	v_fma_mix_f32 v9, v11, v196, v9 op_sel_hi:[0,1,0]
	v_fma_f32 v11, v6, v189, -v7
	v_fma_mix_f32 v9, v11, v191, v9 op_sel_hi:[0,1,0]
	v_cvt_f32_i32_e32 v10, v190
	v_fma_f32 v10, v6, v10, -v7
	v_fma_mix_f32 v9, v10, v191, v9 op_sel_hi:[0,1,0]
	ds_bpermute_b32 v10, v175, v9
	s_waitcnt lgkmcnt(0)
	v_add_f32_e32 v9, v9, v10
	ds_bpermute_b32 v10, v176, v9
	s_waitcnt lgkmcnt(0)
	v_add_f32_e32 v9, v9, v10
	v_cmp_nlt_f32_e64 s[12:13], |v9|, s21
                                        ; implicit-def: $vgpr10
	s_and_saveexec_b64 s[18:19], s[12:13]
	s_xor_b64 s[12:13], exec, s[18:19]
	s_cbranch_execz .LBB18_13
; %bb.12:                               ;   in Loop: Header=BB18_11 Depth=1
	v_add_f32_e64 v10, |v9|, |v9|
	v_mul_f32_e32 v11, 0x3fb8aa3b, v10
	v_rndne_f32_e32 v189, v11
	v_sub_f32_e32 v190, v11, v189
	v_fma_f32 v11, v10, s47, -v11
	v_fmac_f32_e32 v11, 0x32a5705f, v10
	v_add_f32_e32 v11, v190, v11
	v_cvt_i32_f32_e32 v189, v189
	v_exp_f32_e32 v11, v11
	v_cmp_ngt_f32_e32 vcc, s49, v10
	v_ldexp_f32 v11, v11, v189
	v_cndmask_b32_e32 v11, 0, v11, vcc
	v_cmp_nlt_f32_e32 vcc, s50, v10
	v_cndmask_b32_e32 v10, v186, v11, vcc
	v_add_f32_e32 v10, 1.0, v10
	v_rcp_f32_e32 v10, v10
	v_fma_f32 v10, v10, -2.0, 1.0
.LBB18_13:                              ;   in Loop: Header=BB18_11 Depth=1
	s_andn2_saveexec_b64 s[12:13], s[12:13]
; %bb.14:                               ;   in Loop: Header=BB18_11 Depth=1
	v_mul_f32_e32 v10, v9, v9
	v_mov_b32_e32 v11, 0x3ca908c9
	v_fmac_f32_e32 v11, 0xbbbac73d, v10
	v_fma_f32 v11, v10, v11, v183
	v_fma_f32 v11, v10, v11, v184
	;; [unrolled: 1-line block ×3, first 2 shown]
	v_mul_f32_e64 v11, |v9|, v11
	v_fma_f32 v10, v10, v11, |v9|
; %bb.15:                               ;   in Loop: Header=BB18_11 Depth=1
	s_or_b64 exec, exec, s[12:13]
	v_bfi_b32 v9, s51, v10, v9
	v_cndmask_b32_e64 v10, 0, 1, s[26:27]
	v_cmp_ne_u32_e64 s[12:13], 1, v10
	s_andn2_b64 vcc, exec, s[26:27]
	v_mul_f32_e32 v9, s45, v9
	s_cbranch_vccnz .LBB18_17
; %bb.16:                               ;   in Loop: Header=BB18_11 Depth=1
	global_load_ushort v10, v[22:23], off offset:-6
	s_waitcnt vmcnt(0)
	v_fma_mix_f32 v9, v172, v10, v9 op_sel_hi:[0,1,0]
.LBB18_17:                              ;   in Loop: Header=BB18_11 Depth=1
	v_mov_b32_e32 v189, s37
	v_add_co_u32_e32 v10, vcc, s36, v56
	v_addc_co_u32_e32 v11, vcc, v57, v189, vcc
	v_add_co_u32_e32 v190, vcc, s36, v54
	v_addc_co_u32_e32 v191, vcc, v55, v189, vcc
	global_load_dword v189, v[10:11], off
	global_load_ushort v192, v[10:11], off offset:4
	global_load_dword v193, v[190:191], off offset:6
	global_load_dword v194, v[10:11], off offset:22
	global_load_ushort v195, v[10:11], off offset:26
	global_load_dword v196, v[190:191], off offset:28
	global_load_dword v197, v[10:11], off offset:44
	global_load_ushort v198, v[10:11], off offset:48
	global_load_dword v199, v[190:191], off offset:50
	s_nop 0
	global_load_dword v190, v[190:191], off offset:72
	s_nop 0
	;; [unrolled: 2-line block ×3, first 2 shown]
	global_load_ushort v10, v[10:11], off offset:70
	v_mov_b32_e32 v200, 0
	v_mov_b32_e32 v201, 0
	;; [unrolled: 1-line block ×4, first 2 shown]
	s_waitcnt vmcnt(10)
	v_perm_b32 v11, v189, v192, s20
	v_ashrrev_i32_e32 v206, v12, v11
	v_ashrrev_i32_e32 v11, v182, v11
	s_waitcnt vmcnt(7)
	v_perm_b32 v195, v194, v195, s20
	v_lshlrev_b32_e32 v209, 4, v206
	v_lshlrev_b32_e32 v210, 11, v206
	;; [unrolled: 1-line block ×4, first 2 shown]
	v_and_b32_e32 v192, 0xf0f0f0f, v193
	v_lshrrev_b32_e32 v193, 4, v193
	v_ashrrev_i32_e32 v207, v12, v195
	v_lshlrev_b32_e32 v212, 4, v11
	v_lshlrev_b32_e32 v213, 11, v11
	;; [unrolled: 1-line block ×4, first 2 shown]
	v_and_b32_e32 v211, 0x100000, v211
	v_and_b32_e32 v206, 0x10000000, v206
	;; [unrolled: 1-line block ×3, first 2 shown]
	v_lshlrev_b32_e32 v215, 4, v207
	v_lshlrev_b32_e32 v216, 11, v207
	;; [unrolled: 1-line block ×4, first 2 shown]
	v_and_b32_e32 v209, 16, v209
	v_and_b32_e32 v210, 0x1000, v210
	;; [unrolled: 1-line block ×4, first 2 shown]
	v_or3_b32 v192, v206, v192, v211
	s_waitcnt vmcnt(6)
	v_and_b32_e32 v204, 0xf0f0f0f, v196
	v_and_b32_e32 v212, 16, v212
	;; [unrolled: 1-line block ×5, first 2 shown]
	v_or3_b32 v11, v11, v193, v214
	v_or3_b32 v192, v192, v209, v210
	v_and_b32_e32 v215, 16, v215
	v_and_b32_e32 v216, 0x1000, v216
	v_or3_b32 v193, v207, v204, v217
	v_or3_b32 v11, v11, v212, v213
	v_dot4c_i32_i8_e32 v200, v192, v14
	v_or3_b32 v193, v193, v215, v216
	v_dot4c_i32_i8_e32 v201, v11, v15
	v_dot4c_i32_i8_e32 v202, v193, v16
	v_cvt_f32_i32_e32 v11, v200
	s_waitcnt vmcnt(4)
	v_perm_b32 v198, v197, v198, s20
	v_cvt_f32_i32_e32 v192, v201
	v_cvt_f32_i32_e32 v193, v202
	v_fma_f32 v11, v0, v11, -v1
	v_fma_mix_f32 v11, v11, v189, 0 op_sel_hi:[0,1,0]
	v_fma_f32 v192, v0, v192, -v1
	v_ashrrev_i32_e32 v208, v12, v198
	v_fma_f32 v193, v2, v193, -v3
	v_fma_mix_f32 v11, v192, v189, v11 op_sel_hi:[0,1,0]
	v_fma_mix_f32 v11, v193, v194, v11 op_sel_hi:[0,1,0]
	v_lshlrev_b32_e32 v192, 18, v208
	v_lshlrev_b32_e32 v193, 25, v208
	s_waitcnt vmcnt(3)
	v_and_b32_e32 v205, 0xf0f0f0f, v199
	v_lshlrev_b32_e32 v221, 4, v208
	v_lshlrev_b32_e32 v189, 11, v208
	v_and_b32_e32 v192, 0x100000, v192
	v_and_b32_e32 v193, 0x10000000, v193
	v_ashrrev_i32_e32 v195, v182, v195
	v_and_b32_e32 v221, 16, v221
	v_and_b32_e32 v189, 0x1000, v189
	v_or3_b32 v192, v193, v205, v192
	v_lshrrev_b32_e32 v196, 4, v196
	v_lshlrev_b32_e32 v218, 4, v195
	v_lshlrev_b32_e32 v219, 11, v195
	;; [unrolled: 1-line block ×4, first 2 shown]
	v_or3_b32 v189, v192, v221, v189
	v_mov_b32_e32 v192, 0
	v_and_b32_e32 v196, 0xf0f0f0f, v196
	v_and_b32_e32 v220, 0x100000, v220
	;; [unrolled: 1-line block ×3, first 2 shown]
	v_dot4c_i32_i8_e32 v192, v189, v18
	v_ashrrev_i32_e32 v193, v182, v198
	v_and_b32_e32 v218, 16, v218
	v_and_b32_e32 v219, 0x1000, v219
	v_or3_b32 v195, v195, v196, v220
	v_cvt_f32_i32_e32 v189, v192
	v_lshrrev_b32_e32 v192, 4, v199
	v_lshlrev_b32_e32 v196, 4, v193
	v_lshlrev_b32_e32 v198, 11, v193
	;; [unrolled: 1-line block ×4, first 2 shown]
	v_or3_b32 v195, v195, v218, v219
	v_and_b32_e32 v192, 0xf0f0f0f, v192
	v_and_b32_e32 v199, 0x100000, v199
	;; [unrolled: 1-line block ×3, first 2 shown]
	v_dot4c_i32_i8_e32 v203, v195, v17
	v_and_b32_e32 v196, 16, v196
	v_and_b32_e32 v198, 0x1000, v198
	v_or3_b32 v192, v193, v192, v199
	v_cvt_f32_i32_e32 v195, v203
	v_or3_b32 v192, v192, v196, v198
	v_mov_b32_e32 v193, 0
	v_dot4c_i32_i8_e32 v193, v192, v19
	v_fma_f32 v195, v2, v195, -v3
	v_fma_mix_f32 v11, v195, v194, v11 op_sel_hi:[0,1,0]
	v_fma_f32 v189, v4, v189, -v5
	v_cvt_f32_i32_e32 v192, v193
	s_waitcnt vmcnt(0)
	v_perm_b32 v10, v191, v10, s20
	v_fma_mix_f32 v11, v189, v197, v11 op_sel_hi:[0,1,0]
	v_and_b32_e32 v194, 0xf0f0f0f, v190
	v_fma_f32 v189, v4, v192, -v5
	v_ashrrev_i32_e32 v192, v12, v10
	v_lshlrev_b32_e32 v193, 4, v192
	v_lshlrev_b32_e32 v195, 11, v192
	;; [unrolled: 1-line block ×4, first 2 shown]
	v_and_b32_e32 v196, 0x100000, v196
	v_and_b32_e32 v192, 0x10000000, v192
	;; [unrolled: 1-line block ×4, first 2 shown]
	v_or3_b32 v192, v192, v194, v196
	v_or3_b32 v192, v192, v193, v195
	v_mov_b32_e32 v193, 0
	v_dot4c_i32_i8_e32 v193, v192, v20
	v_ashrrev_i32_e32 v10, v182, v10
	v_lshrrev_b32_e32 v190, 4, v190
	v_lshlrev_b32_e32 v194, 11, v10
	v_cvt_f32_i32_e32 v192, v193
	v_lshlrev_b32_e32 v193, 4, v10
	v_lshlrev_b32_e32 v195, 18, v10
	;; [unrolled: 1-line block ×3, first 2 shown]
	v_and_b32_e32 v190, 0xf0f0f0f, v190
	v_and_b32_e32 v195, 0x100000, v195
	;; [unrolled: 1-line block ×5, first 2 shown]
	v_or3_b32 v10, v10, v190, v195
	v_or3_b32 v10, v10, v193, v194
	v_mov_b32_e32 v190, 0
	v_dot4c_i32_i8_e32 v190, v10, v21
	v_fma_mix_f32 v11, v189, v197, v11 op_sel_hi:[0,1,0]
	v_fma_f32 v189, v6, v192, -v7
	v_fma_mix_f32 v11, v189, v191, v11 op_sel_hi:[0,1,0]
	v_cvt_f32_i32_e32 v10, v190
	v_fma_f32 v10, v6, v10, -v7
	v_fma_mix_f32 v10, v10, v191, v11 op_sel_hi:[0,1,0]
	ds_bpermute_b32 v11, v175, v10
	s_waitcnt lgkmcnt(0)
	v_add_f32_e32 v10, v10, v11
	ds_bpermute_b32 v11, v176, v10
	s_waitcnt lgkmcnt(0)
	v_add_f32_e32 v10, v10, v11
	v_cmp_nlt_f32_e64 s[18:19], |v10|, s21
                                        ; implicit-def: $vgpr11
	s_and_saveexec_b64 s[52:53], s[18:19]
	s_xor_b64 s[18:19], exec, s[52:53]
	s_cbranch_execz .LBB18_19
; %bb.18:                               ;   in Loop: Header=BB18_11 Depth=1
	v_add_f32_e64 v11, |v10|, |v10|
	v_mul_f32_e32 v189, 0x3fb8aa3b, v11
	v_rndne_f32_e32 v190, v189
	v_sub_f32_e32 v191, v189, v190
	v_fma_f32 v189, v11, s47, -v189
	v_fmac_f32_e32 v189, 0x32a5705f, v11
	v_add_f32_e32 v189, v191, v189
	v_cvt_i32_f32_e32 v190, v190
	v_exp_f32_e32 v189, v189
	v_cmp_ngt_f32_e32 vcc, s49, v11
	v_ldexp_f32 v189, v189, v190
	v_cndmask_b32_e32 v189, 0, v189, vcc
	v_cmp_nlt_f32_e32 vcc, s50, v11
	v_cndmask_b32_e32 v11, v186, v189, vcc
	v_add_f32_e32 v11, 1.0, v11
	v_rcp_f32_e32 v11, v11
	v_fma_f32 v11, v11, -2.0, 1.0
.LBB18_19:                              ;   in Loop: Header=BB18_11 Depth=1
	s_andn2_saveexec_b64 s[18:19], s[18:19]
; %bb.20:                               ;   in Loop: Header=BB18_11 Depth=1
	v_mul_f32_e32 v11, v10, v10
	v_mov_b32_e32 v189, 0x3ca908c9
	v_fmac_f32_e32 v189, 0xbbbac73d, v11
	v_fma_f32 v189, v11, v189, v183
	v_fma_f32 v189, v11, v189, v184
	;; [unrolled: 1-line block ×3, first 2 shown]
	v_mul_f32_e64 v189, |v10|, v189
	v_fma_f32 v11, v11, v189, |v10|
; %bb.21:                               ;   in Loop: Header=BB18_11 Depth=1
	s_or_b64 exec, exec, s[18:19]
	v_bfi_b32 v10, s51, v11, v10
	s_and_b64 vcc, exec, s[12:13]
	v_mul_f32_e32 v10, s45, v10
	s_cbranch_vccnz .LBB18_23
; %bb.22:                               ;   in Loop: Header=BB18_11 Depth=1
	global_load_ushort v11, v[22:23], off offset:-4
	s_waitcnt vmcnt(0)
	v_fma_mix_f32 v10, v172, v11, v10 op_sel_hi:[0,1,0]
.LBB18_23:                              ;   in Loop: Header=BB18_11 Depth=1
	v_mov_b32_e32 v11, s37
	v_add_co_u32_e32 v190, vcc, s36, v38
	v_addc_co_u32_e32 v191, vcc, v39, v11, vcc
	v_add_co_u32_e32 v192, vcc, s36, v36
	v_addc_co_u32_e32 v193, vcc, v37, v11, vcc
	global_load_dword v11, v[190:191], off
	global_load_ushort v189, v[190:191], off offset:4
	global_load_dword v194, v[192:193], off offset:6
	global_load_dword v195, v[190:191], off offset:22
	global_load_ushort v196, v[190:191], off offset:26
	global_load_dword v197, v[192:193], off offset:28
	global_load_dword v198, v[190:191], off offset:44
	global_load_ushort v199, v[190:191], off offset:48
	global_load_dword v200, v[192:193], off offset:50
	s_nop 0
	global_load_dword v192, v[192:193], off offset:72
	s_nop 0
	;; [unrolled: 2-line block ×3, first 2 shown]
	global_load_ushort v190, v[190:191], off offset:70
	v_mov_b32_e32 v201, 0
	v_mov_b32_e32 v202, 0
	;; [unrolled: 1-line block ×4, first 2 shown]
	s_waitcnt vmcnt(10)
	v_perm_b32 v189, v11, v189, s20
	v_ashrrev_i32_e32 v207, v12, v189
	v_ashrrev_i32_e32 v189, v182, v189
	s_waitcnt vmcnt(7)
	v_perm_b32 v196, v195, v196, s20
	v_lshlrev_b32_e32 v210, 4, v207
	v_lshlrev_b32_e32 v211, 11, v207
	;; [unrolled: 1-line block ×4, first 2 shown]
	v_and_b32_e32 v191, 0xf0f0f0f, v194
	v_lshrrev_b32_e32 v194, 4, v194
	v_ashrrev_i32_e32 v208, v12, v196
	v_lshlrev_b32_e32 v213, 4, v189
	v_lshlrev_b32_e32 v214, 11, v189
	v_lshlrev_b32_e32 v215, 18, v189
	v_lshlrev_b32_e32 v189, 25, v189
	v_and_b32_e32 v212, 0x100000, v212
	v_and_b32_e32 v207, 0x10000000, v207
	;; [unrolled: 1-line block ×3, first 2 shown]
	v_lshlrev_b32_e32 v216, 4, v208
	v_lshlrev_b32_e32 v217, 11, v208
	;; [unrolled: 1-line block ×4, first 2 shown]
	v_and_b32_e32 v210, 16, v210
	v_and_b32_e32 v211, 0x1000, v211
	;; [unrolled: 1-line block ×4, first 2 shown]
	v_or3_b32 v191, v207, v191, v212
	s_waitcnt vmcnt(6)
	v_and_b32_e32 v205, 0xf0f0f0f, v197
	v_and_b32_e32 v213, 16, v213
	;; [unrolled: 1-line block ×5, first 2 shown]
	v_or3_b32 v189, v189, v194, v215
	v_or3_b32 v191, v191, v210, v211
	v_and_b32_e32 v216, 16, v216
	v_and_b32_e32 v217, 0x1000, v217
	v_or3_b32 v194, v208, v205, v218
	v_or3_b32 v189, v189, v213, v214
	v_dot4c_i32_i8_e32 v201, v191, v14
	v_or3_b32 v194, v194, v216, v217
	v_dot4c_i32_i8_e32 v202, v189, v15
	v_dot4c_i32_i8_e32 v203, v194, v16
	v_cvt_f32_i32_e32 v189, v201
	s_waitcnt vmcnt(4)
	v_perm_b32 v199, v198, v199, s20
	v_cvt_f32_i32_e32 v191, v202
	v_cvt_f32_i32_e32 v194, v203
	v_fma_f32 v189, v0, v189, -v1
	v_fma_mix_f32 v189, v189, v11, 0 op_sel_hi:[0,1,0]
	v_fma_f32 v191, v0, v191, -v1
	v_ashrrev_i32_e32 v209, v12, v199
	v_fma_f32 v194, v2, v194, -v3
	v_fma_mix_f32 v11, v191, v11, v189 op_sel_hi:[0,1,0]
	v_fma_mix_f32 v11, v194, v195, v11 op_sel_hi:[0,1,0]
	v_lshlrev_b32_e32 v191, 18, v209
	v_lshlrev_b32_e32 v194, 25, v209
	s_waitcnt vmcnt(3)
	v_and_b32_e32 v206, 0xf0f0f0f, v200
	v_lshlrev_b32_e32 v222, 4, v209
	v_lshlrev_b32_e32 v189, 11, v209
	v_and_b32_e32 v191, 0x100000, v191
	v_and_b32_e32 v194, 0x10000000, v194
	v_ashrrev_i32_e32 v196, v182, v196
	v_and_b32_e32 v222, 16, v222
	v_and_b32_e32 v189, 0x1000, v189
	v_or3_b32 v191, v194, v206, v191
	v_lshrrev_b32_e32 v197, 4, v197
	v_lshlrev_b32_e32 v219, 4, v196
	v_lshlrev_b32_e32 v220, 11, v196
	;; [unrolled: 1-line block ×4, first 2 shown]
	v_or3_b32 v189, v191, v222, v189
	v_mov_b32_e32 v191, 0
	v_and_b32_e32 v197, 0xf0f0f0f, v197
	v_and_b32_e32 v221, 0x100000, v221
	;; [unrolled: 1-line block ×3, first 2 shown]
	v_dot4c_i32_i8_e32 v191, v189, v18
	v_ashrrev_i32_e32 v194, v182, v199
	v_and_b32_e32 v219, 16, v219
	v_and_b32_e32 v220, 0x1000, v220
	v_or3_b32 v196, v196, v197, v221
	v_cvt_f32_i32_e32 v189, v191
	v_lshrrev_b32_e32 v191, 4, v200
	v_lshlrev_b32_e32 v197, 4, v194
	v_lshlrev_b32_e32 v199, 11, v194
	;; [unrolled: 1-line block ×4, first 2 shown]
	v_or3_b32 v196, v196, v219, v220
	v_and_b32_e32 v191, 0xf0f0f0f, v191
	v_and_b32_e32 v200, 0x100000, v200
	;; [unrolled: 1-line block ×3, first 2 shown]
	v_dot4c_i32_i8_e32 v204, v196, v17
	v_and_b32_e32 v197, 16, v197
	v_and_b32_e32 v199, 0x1000, v199
	v_or3_b32 v191, v194, v191, v200
	v_cvt_f32_i32_e32 v196, v204
	v_or3_b32 v191, v191, v197, v199
	v_mov_b32_e32 v194, 0
	v_dot4c_i32_i8_e32 v194, v191, v19
	v_fma_f32 v196, v2, v196, -v3
	v_fma_mix_f32 v11, v196, v195, v11 op_sel_hi:[0,1,0]
	v_fma_f32 v189, v4, v189, -v5
	v_cvt_f32_i32_e32 v191, v194
	s_waitcnt vmcnt(0)
	v_perm_b32 v190, v193, v190, s20
	v_fma_mix_f32 v11, v189, v198, v11 op_sel_hi:[0,1,0]
	v_and_b32_e32 v195, 0xf0f0f0f, v192
	v_fma_f32 v189, v4, v191, -v5
	v_ashrrev_i32_e32 v191, v12, v190
	v_lshlrev_b32_e32 v194, 4, v191
	v_lshlrev_b32_e32 v196, 11, v191
	;; [unrolled: 1-line block ×4, first 2 shown]
	v_and_b32_e32 v197, 0x100000, v197
	v_and_b32_e32 v191, 0x10000000, v191
	;; [unrolled: 1-line block ×4, first 2 shown]
	v_or3_b32 v191, v191, v195, v197
	v_or3_b32 v191, v191, v194, v196
	v_mov_b32_e32 v194, 0
	v_dot4c_i32_i8_e32 v194, v191, v20
	v_ashrrev_i32_e32 v190, v182, v190
	v_lshrrev_b32_e32 v192, 4, v192
	v_lshlrev_b32_e32 v195, 11, v190
	v_cvt_f32_i32_e32 v191, v194
	v_lshlrev_b32_e32 v194, 4, v190
	v_lshlrev_b32_e32 v196, 18, v190
	;; [unrolled: 1-line block ×3, first 2 shown]
	v_and_b32_e32 v192, 0xf0f0f0f, v192
	v_and_b32_e32 v196, 0x100000, v196
	;; [unrolled: 1-line block ×5, first 2 shown]
	v_or3_b32 v190, v190, v192, v196
	v_or3_b32 v190, v190, v194, v195
	v_mov_b32_e32 v192, 0
	v_dot4c_i32_i8_e32 v192, v190, v21
	v_fma_mix_f32 v11, v189, v198, v11 op_sel_hi:[0,1,0]
	v_fma_f32 v189, v6, v191, -v7
	v_fma_mix_f32 v11, v189, v193, v11 op_sel_hi:[0,1,0]
	v_cvt_f32_i32_e32 v190, v192
	v_fma_f32 v189, v6, v190, -v7
	v_fma_mix_f32 v11, v189, v193, v11 op_sel_hi:[0,1,0]
	ds_bpermute_b32 v189, v175, v11
	s_waitcnt lgkmcnt(0)
	v_add_f32_e32 v11, v11, v189
	ds_bpermute_b32 v189, v176, v11
	s_waitcnt lgkmcnt(0)
	v_add_f32_e32 v11, v11, v189
	v_cmp_nlt_f32_e64 s[18:19], |v11|, s21
                                        ; implicit-def: $vgpr189
	s_and_saveexec_b64 s[52:53], s[18:19]
	s_xor_b64 s[18:19], exec, s[52:53]
	s_cbranch_execz .LBB18_25
; %bb.24:                               ;   in Loop: Header=BB18_11 Depth=1
	v_add_f32_e64 v189, |v11|, |v11|
	v_mul_f32_e32 v190, 0x3fb8aa3b, v189
	v_rndne_f32_e32 v191, v190
	v_sub_f32_e32 v192, v190, v191
	v_fma_f32 v190, v189, s47, -v190
	v_fmac_f32_e32 v190, 0x32a5705f, v189
	v_add_f32_e32 v190, v192, v190
	v_cvt_i32_f32_e32 v191, v191
	v_exp_f32_e32 v190, v190
	v_cmp_ngt_f32_e32 vcc, s49, v189
	v_ldexp_f32 v190, v190, v191
	v_cndmask_b32_e32 v190, 0, v190, vcc
	v_cmp_nlt_f32_e32 vcc, s50, v189
	v_cndmask_b32_e32 v189, v186, v190, vcc
	v_add_f32_e32 v189, 1.0, v189
	v_rcp_f32_e32 v189, v189
	v_fma_f32 v189, v189, -2.0, 1.0
.LBB18_25:                              ;   in Loop: Header=BB18_11 Depth=1
	s_andn2_saveexec_b64 s[18:19], s[18:19]
; %bb.26:                               ;   in Loop: Header=BB18_11 Depth=1
	v_mul_f32_e32 v189, v11, v11
	v_mov_b32_e32 v190, 0x3ca908c9
	v_fmac_f32_e32 v190, 0xbbbac73d, v189
	v_fma_f32 v190, v189, v190, v183
	v_fma_f32 v190, v189, v190, v184
	;; [unrolled: 1-line block ×3, first 2 shown]
	v_mul_f32_e64 v190, |v11|, v190
	v_fma_f32 v189, v189, v190, |v11|
; %bb.27:                               ;   in Loop: Header=BB18_11 Depth=1
	s_or_b64 exec, exec, s[18:19]
	v_bfi_b32 v11, s51, v189, v11
	s_and_b64 vcc, exec, s[12:13]
	v_mul_f32_e32 v11, s45, v11
	s_cbranch_vccnz .LBB18_29
; %bb.28:                               ;   in Loop: Header=BB18_11 Depth=1
	global_load_ushort v189, v[22:23], off offset:-2
	s_waitcnt vmcnt(0)
	v_fma_mix_f32 v11, v172, v189, v11 op_sel_hi:[0,1,0]
.LBB18_29:                              ;   in Loop: Header=BB18_11 Depth=1
	v_mov_b32_e32 v189, s37
	v_add_co_u32_e32 v190, vcc, s36, v26
	v_addc_co_u32_e32 v191, vcc, v27, v189, vcc
	v_add_co_u32_e32 v192, vcc, s36, v24
	v_addc_co_u32_e32 v193, vcc, v25, v189, vcc
	global_load_dword v189, v[190:191], off
	global_load_ushort v194, v[190:191], off offset:4
	global_load_dword v195, v[192:193], off offset:6
	global_load_dword v196, v[190:191], off offset:22
	global_load_ushort v197, v[190:191], off offset:26
	global_load_dword v198, v[192:193], off offset:28
	global_load_dword v199, v[190:191], off offset:44
	global_load_ushort v200, v[190:191], off offset:48
	global_load_dword v201, v[192:193], off offset:50
	s_nop 0
	global_load_dword v192, v[192:193], off offset:72
	s_nop 0
	;; [unrolled: 2-line block ×3, first 2 shown]
	global_load_ushort v190, v[190:191], off offset:70
	v_mov_b32_e32 v202, 0
	v_mov_b32_e32 v203, 0
	;; [unrolled: 1-line block ×4, first 2 shown]
	s_waitcnt vmcnt(10)
	v_perm_b32 v191, v189, v194, s20
	v_ashrrev_i32_e32 v208, v12, v191
	v_ashrrev_i32_e32 v191, v182, v191
	s_waitcnt vmcnt(7)
	v_perm_b32 v197, v196, v197, s20
	v_lshlrev_b32_e32 v211, 4, v208
	v_lshlrev_b32_e32 v212, 11, v208
	;; [unrolled: 1-line block ×4, first 2 shown]
	v_and_b32_e32 v194, 0xf0f0f0f, v195
	v_lshrrev_b32_e32 v195, 4, v195
	v_ashrrev_i32_e32 v209, v12, v197
	v_lshlrev_b32_e32 v214, 4, v191
	v_lshlrev_b32_e32 v215, 11, v191
	;; [unrolled: 1-line block ×4, first 2 shown]
	v_and_b32_e32 v213, 0x100000, v213
	v_and_b32_e32 v208, 0x10000000, v208
	;; [unrolled: 1-line block ×3, first 2 shown]
	v_lshlrev_b32_e32 v217, 4, v209
	v_lshlrev_b32_e32 v218, 11, v209
	;; [unrolled: 1-line block ×4, first 2 shown]
	v_and_b32_e32 v211, 16, v211
	v_and_b32_e32 v212, 0x1000, v212
	;; [unrolled: 1-line block ×4, first 2 shown]
	v_or3_b32 v194, v208, v194, v213
	s_waitcnt vmcnt(6)
	v_and_b32_e32 v206, 0xf0f0f0f, v198
	v_and_b32_e32 v214, 16, v214
	;; [unrolled: 1-line block ×5, first 2 shown]
	v_or3_b32 v191, v191, v195, v216
	v_or3_b32 v194, v194, v211, v212
	v_and_b32_e32 v217, 16, v217
	v_and_b32_e32 v218, 0x1000, v218
	v_or3_b32 v195, v209, v206, v219
	v_or3_b32 v191, v191, v214, v215
	v_dot4c_i32_i8_e32 v202, v194, v14
	v_or3_b32 v195, v195, v217, v218
	v_dot4c_i32_i8_e32 v203, v191, v15
	v_dot4c_i32_i8_e32 v204, v195, v16
	v_cvt_f32_i32_e32 v191, v202
	s_waitcnt vmcnt(4)
	v_perm_b32 v200, v199, v200, s20
	v_cvt_f32_i32_e32 v194, v203
	v_cvt_f32_i32_e32 v195, v204
	v_fma_f32 v191, v0, v191, -v1
	v_fma_mix_f32 v191, v191, v189, 0 op_sel_hi:[0,1,0]
	v_fma_f32 v194, v0, v194, -v1
	v_ashrrev_i32_e32 v210, v12, v200
	v_fma_f32 v195, v2, v195, -v3
	v_fma_mix_f32 v189, v194, v189, v191 op_sel_hi:[0,1,0]
	v_fma_mix_f32 v189, v195, v196, v189 op_sel_hi:[0,1,0]
	v_lshlrev_b32_e32 v194, 18, v210
	v_lshlrev_b32_e32 v195, 25, v210
	s_waitcnt vmcnt(3)
	v_and_b32_e32 v207, 0xf0f0f0f, v201
	v_lshlrev_b32_e32 v223, 4, v210
	v_lshlrev_b32_e32 v191, 11, v210
	v_and_b32_e32 v194, 0x100000, v194
	v_and_b32_e32 v195, 0x10000000, v195
	v_ashrrev_i32_e32 v197, v182, v197
	v_and_b32_e32 v223, 16, v223
	v_and_b32_e32 v191, 0x1000, v191
	v_or3_b32 v194, v195, v207, v194
	v_lshrrev_b32_e32 v198, 4, v198
	v_lshlrev_b32_e32 v220, 4, v197
	v_lshlrev_b32_e32 v221, 11, v197
	;; [unrolled: 1-line block ×4, first 2 shown]
	v_or3_b32 v191, v194, v223, v191
	v_mov_b32_e32 v194, 0
	v_and_b32_e32 v198, 0xf0f0f0f, v198
	v_and_b32_e32 v222, 0x100000, v222
	;; [unrolled: 1-line block ×3, first 2 shown]
	v_dot4c_i32_i8_e32 v194, v191, v18
	v_ashrrev_i32_e32 v195, v182, v200
	v_and_b32_e32 v220, 16, v220
	v_and_b32_e32 v221, 0x1000, v221
	v_or3_b32 v197, v197, v198, v222
	v_cvt_f32_i32_e32 v191, v194
	v_lshrrev_b32_e32 v194, 4, v201
	v_lshlrev_b32_e32 v198, 4, v195
	v_lshlrev_b32_e32 v200, 11, v195
	;; [unrolled: 1-line block ×4, first 2 shown]
	v_or3_b32 v197, v197, v220, v221
	v_and_b32_e32 v194, 0xf0f0f0f, v194
	v_and_b32_e32 v201, 0x100000, v201
	;; [unrolled: 1-line block ×3, first 2 shown]
	v_dot4c_i32_i8_e32 v205, v197, v17
	v_and_b32_e32 v198, 16, v198
	v_and_b32_e32 v200, 0x1000, v200
	v_or3_b32 v194, v195, v194, v201
	v_cvt_f32_i32_e32 v197, v205
	v_or3_b32 v194, v194, v198, v200
	v_mov_b32_e32 v195, 0
	v_dot4c_i32_i8_e32 v195, v194, v19
	v_fma_f32 v197, v2, v197, -v3
	v_fma_mix_f32 v189, v197, v196, v189 op_sel_hi:[0,1,0]
	v_fma_f32 v191, v4, v191, -v5
	v_cvt_f32_i32_e32 v194, v195
	s_waitcnt vmcnt(0)
	v_perm_b32 v190, v193, v190, s20
	v_fma_mix_f32 v189, v191, v199, v189 op_sel_hi:[0,1,0]
	v_and_b32_e32 v196, 0xf0f0f0f, v192
	v_fma_f32 v191, v4, v194, -v5
	v_ashrrev_i32_e32 v194, v12, v190
	v_lshlrev_b32_e32 v195, 4, v194
	v_lshlrev_b32_e32 v197, 11, v194
	;; [unrolled: 1-line block ×4, first 2 shown]
	v_and_b32_e32 v198, 0x100000, v198
	v_and_b32_e32 v194, 0x10000000, v194
	;; [unrolled: 1-line block ×4, first 2 shown]
	v_or3_b32 v194, v194, v196, v198
	v_or3_b32 v194, v194, v195, v197
	v_mov_b32_e32 v195, 0
	v_dot4c_i32_i8_e32 v195, v194, v20
	v_ashrrev_i32_e32 v190, v182, v190
	v_lshrrev_b32_e32 v192, 4, v192
	v_lshlrev_b32_e32 v196, 11, v190
	v_cvt_f32_i32_e32 v194, v195
	v_lshlrev_b32_e32 v195, 4, v190
	v_lshlrev_b32_e32 v197, 18, v190
	;; [unrolled: 1-line block ×3, first 2 shown]
	v_and_b32_e32 v192, 0xf0f0f0f, v192
	v_and_b32_e32 v197, 0x100000, v197
	;; [unrolled: 1-line block ×5, first 2 shown]
	v_or3_b32 v190, v190, v192, v197
	v_or3_b32 v190, v190, v195, v196
	v_mov_b32_e32 v192, 0
	v_dot4c_i32_i8_e32 v192, v190, v21
	v_fma_mix_f32 v189, v191, v199, v189 op_sel_hi:[0,1,0]
	v_fma_f32 v191, v6, v194, -v7
	v_fma_mix_f32 v189, v191, v193, v189 op_sel_hi:[0,1,0]
	v_cvt_f32_i32_e32 v190, v192
	v_fma_f32 v190, v6, v190, -v7
	v_fma_mix_f32 v189, v190, v193, v189 op_sel_hi:[0,1,0]
	ds_bpermute_b32 v190, v175, v189
	s_waitcnt lgkmcnt(0)
	v_add_f32_e32 v189, v189, v190
	ds_bpermute_b32 v190, v176, v189
	s_waitcnt lgkmcnt(0)
	v_add_f32_e32 v189, v189, v190
	v_cmp_nlt_f32_e64 s[18:19], |v189|, s21
                                        ; implicit-def: $vgpr190
	s_and_saveexec_b64 s[52:53], s[18:19]
	s_xor_b64 s[18:19], exec, s[52:53]
	s_cbranch_execz .LBB18_31
; %bb.30:                               ;   in Loop: Header=BB18_11 Depth=1
	v_add_f32_e64 v190, |v189|, |v189|
	v_mul_f32_e32 v191, 0x3fb8aa3b, v190
	v_rndne_f32_e32 v192, v191
	v_sub_f32_e32 v193, v191, v192
	v_fma_f32 v191, v190, s47, -v191
	v_fmac_f32_e32 v191, 0x32a5705f, v190
	v_add_f32_e32 v191, v193, v191
	v_cvt_i32_f32_e32 v192, v192
	v_exp_f32_e32 v191, v191
	v_cmp_ngt_f32_e32 vcc, s49, v190
	v_ldexp_f32 v191, v191, v192
	v_cndmask_b32_e32 v191, 0, v191, vcc
	v_cmp_nlt_f32_e32 vcc, s50, v190
	v_cndmask_b32_e32 v190, v186, v191, vcc
	v_add_f32_e32 v190, 1.0, v190
	v_rcp_f32_e32 v190, v190
	v_fma_f32 v190, v190, -2.0, 1.0
.LBB18_31:                              ;   in Loop: Header=BB18_11 Depth=1
	s_andn2_saveexec_b64 s[18:19], s[18:19]
; %bb.32:                               ;   in Loop: Header=BB18_11 Depth=1
	v_mul_f32_e32 v190, v189, v189
	v_mov_b32_e32 v191, 0x3ca908c9
	v_fmac_f32_e32 v191, 0xbbbac73d, v190
	v_fma_f32 v191, v190, v191, v183
	v_fma_f32 v191, v190, v191, v184
	;; [unrolled: 1-line block ×3, first 2 shown]
	v_mul_f32_e64 v191, |v189|, v191
	v_fma_f32 v190, v190, v191, |v189|
; %bb.33:                               ;   in Loop: Header=BB18_11 Depth=1
	s_or_b64 exec, exec, s[18:19]
	v_bfi_b32 v189, s51, v190, v189
	s_and_b64 vcc, exec, s[12:13]
	v_mul_f32_e32 v191, s45, v189
	s_cbranch_vccnz .LBB18_35
; %bb.34:                               ;   in Loop: Header=BB18_11 Depth=1
	global_load_ushort v189, v[22:23], off
	s_waitcnt vmcnt(0)
	v_fma_mix_f32 v191, v172, v189, v191 op_sel_hi:[0,1,0]
.LBB18_35:                              ;   in Loop: Header=BB18_11 Depth=1
	v_add_f32_e32 v189, 0x40051340, v9
	v_add_f32_e32 v190, 0x40051340, v10
	v_max3_f32 v189, v8, v189, v190
	v_add_f32_e32 v190, 0x40051340, v11
	v_add_f32_e32 v192, 0x40051340, v191
	v_cndmask_b32_e64 v9, v187, v9, s[14:15]
	v_max3_f32 v189, v189, v190, v192
	v_cndmask_b32_e64 v9, v9, v10, s[8:9]
	v_mov_b32_e32 v190, s43
	v_add_co_u32_e32 v10, vcc, s17, v30
	v_cndmask_b32_e64 v9, v9, v11, s[10:11]
	v_addc_co_u32_e32 v11, vcc, v31, v190, vcc
	global_load_dword v192, v[10:11], off offset:2
	v_add_co_u32_e32 v10, vcc, s17, v28
	v_addc_co_u32_e32 v11, vcc, v29, v190, vcc
	global_load_ushort v10, v[10:11], off
	ds_bpermute_b32 v11, v177, v189
	v_cndmask_b32_e64 v9, v9, v191, s[2:3]
	s_add_i32 s16, s16, s46
	s_cmp_ge_i32 s16, s42
	s_waitcnt lgkmcnt(0)
	v_max_f32_e32 v11, v11, v11
	v_max_f32_e32 v11, v189, v11
	ds_bpermute_b32 v187, v178, v11
	s_waitcnt lgkmcnt(0)
	v_max_f32_e32 v187, v187, v187
	v_max_f32_e32 v11, v11, v187
	ds_bpermute_b32 v187, v179, v11
	s_waitcnt lgkmcnt(0)
	v_max_f32_e32 v187, v187, v187
	v_max_f32_e32 v189, v11, v187
	v_sub_f32_e32 v11, v8, v189
	v_mul_f32_e32 v8, 0x3fb8aa3b, v11
	v_fma_f32 v187, v11, s47, -v8
	v_rndne_f32_e32 v191, v8
	v_fmac_f32_e32 v187, 0x32a5705f, v11
	v_sub_f32_e32 v8, v8, v191
	v_sub_f32_e32 v193, v9, v189
	v_add_f32_e32 v187, v8, v187
	v_mul_f32_e32 v8, 0x3fb8aa3b, v193
	v_fma_f32 v9, v193, s47, -v8
	v_rndne_f32_e32 v194, v8
	v_fmac_f32_e32 v9, 0x32a5705f, v193
	v_sub_f32_e32 v8, v8, v194
	v_add_f32_e32 v195, v8, v9
	v_add_co_u32_e32 v8, vcc, s17, v34
	v_addc_co_u32_e32 v9, vcc, v35, v190, vcc
	global_load_dword v196, v[8:9], off offset:2
	v_add_co_u32_e32 v8, vcc, s17, v32
	v_addc_co_u32_e32 v9, vcc, v33, v190, vcc
	global_load_ushort v197, v[8:9], off
	v_add_co_u32_e32 v8, vcc, s17, v42
	v_addc_co_u32_e32 v9, vcc, v43, v190, vcc
	global_load_dword v198, v[8:9], off offset:2
	v_add_co_u32_e32 v8, vcc, s17, v40
	v_addc_co_u32_e32 v9, vcc, v41, v190, vcc
	global_load_ushort v199, v[8:9], off
	v_cvt_i32_f32_e32 v8, v191
	v_exp_f32_e32 v9, v187
	v_cmp_ngt_f32_e32 vcc, s49, v193
	v_ldexp_f32 v191, v9, v8
	v_cvt_i32_f32_e32 v8, v194
	v_exp_f32_e32 v9, v195
	v_ldexp_f32 v8, v9, v8
	v_cndmask_b32_e32 v8, 0, v8, vcc
	v_cmp_nlt_f32_e32 vcc, s50, v193
	v_cndmask_b32_e32 v187, v186, v8, vcc
	v_cvt_f16_f32_e32 v8, v187
	ds_write_b16 v173, v8
	s_waitcnt vmcnt(5)
	v_cvt_f16_i16_sdwa v8, sext(v192) dst_sel:DWORD dst_unused:UNUSED_PAD src0_sel:BYTE_0
	v_cvt_f16_i16_sdwa v9, sext(v192) dst_sel:DWORD dst_unused:UNUSED_PAD src0_sel:BYTE_1
	v_pack_b32_f16 v8, v8, v9
	v_lshrrev_b32_e32 v9, 16, v192
	v_cvt_f16_i16_sdwa v192, sext(v9) dst_sel:DWORD dst_unused:UNUSED_PAD src0_sel:BYTE_0
	v_cvt_f16_i16_sdwa v9, sext(v9) dst_sel:DWORD dst_unused:UNUSED_PAD src0_sel:BYTE_1
	v_pack_b32_f16 v9, v192, v9
	s_waitcnt vmcnt(4)
	v_pk_mul_f16 v200, v8, v10 op_sel_hi:[1,0]
	v_add_co_u32_e32 v8, vcc, s17, v46
	v_pk_mul_f16 v201, v10, v9 op_sel_hi:[0,1]
	v_addc_co_u32_e32 v9, vcc, v47, v190, vcc
	global_load_dword v202, v[8:9], off offset:2
	v_add_co_u32_e32 v8, vcc, s17, v44
	v_addc_co_u32_e32 v9, vcc, v45, v190, vcc
	global_load_ushort v203, v[8:9], off
	v_add_co_u32_e32 v8, vcc, s17, v50
	v_addc_co_u32_e32 v9, vcc, v51, v190, vcc
	global_load_dword v204, v[8:9], off offset:2
	v_add_co_u32_e32 v8, vcc, s17, v48
	v_addc_co_u32_e32 v9, vcc, v49, v190, vcc
	global_load_ushort v205, v[8:9], off
	v_add_co_u32_e32 v8, vcc, s17, v58
	;; [unrolled: 6-line block ×4, first 2 shown]
	v_addc_co_u32_e32 v9, vcc, v67, v190, vcc
	global_load_dword v210, v[8:9], off offset:2
	v_add_co_u32_e32 v8, vcc, s17, v64
	v_addc_co_u32_e32 v9, vcc, v65, v190, vcc
	global_load_ushort v211, v[8:9], off
	v_cmp_ngt_f32_e32 vcc, s49, v11
	v_cndmask_b32_e32 v8, 0, v191, vcc
	v_cmp_nlt_f32_e32 vcc, s50, v11
	v_cndmask_b32_e32 v191, v186, v8, vcc
	ds_read_b128 v[192:195], v180
	ds_read_b128 v[8:11], v180 offset:16
	v_cvt_f16_f32_e32 v212, v191
	v_fma_f32 v181, v181, v191, v187
	s_waitcnt lgkmcnt(1)
	v_pk_mul_f16 v201, v192, v201 op_sel_hi:[0,1]
	v_pk_mul_f16 v200, v192, v200 op_sel_hi:[0,1]
	v_pk_fma_f16 v188, v212, v188, v201 op_sel_hi:[0,1,1]
	v_pk_fma_f16 v13, v212, v13, v200 op_sel_hi:[0,1,1]
	s_waitcnt vmcnt(13)
	v_cvt_f16_i16_sdwa v200, sext(v196) dst_sel:DWORD dst_unused:UNUSED_PAD src0_sel:BYTE_0
	v_cvt_f16_i16_sdwa v201, sext(v196) dst_sel:DWORD dst_unused:UNUSED_PAD src0_sel:BYTE_1
	v_lshrrev_b32_e32 v196, 16, v196
	v_pack_b32_f16 v200, v200, v201
	v_cvt_f16_i16_sdwa v201, sext(v196) dst_sel:DWORD dst_unused:UNUSED_PAD src0_sel:BYTE_0
	v_cvt_f16_i16_sdwa v196, sext(v196) dst_sel:DWORD dst_unused:UNUSED_PAD src0_sel:BYTE_1
	v_pack_b32_f16 v196, v201, v196
	s_waitcnt vmcnt(12)
	v_pk_mul_f16 v200, v200, v197 op_sel_hi:[1,0]
	v_pk_mul_f16 v196, v197, v196 op_sel_hi:[0,1]
	v_pk_fma_f16 v13, v192, v200, v13 op_sel:[1,0,0]
	v_pk_fma_f16 v188, v192, v196, v188 op_sel:[1,0,0]
	s_waitcnt vmcnt(11)
	v_cvt_f16_i16_sdwa v192, sext(v198) dst_sel:DWORD dst_unused:UNUSED_PAD src0_sel:BYTE_0
	v_cvt_f16_i16_sdwa v196, sext(v198) dst_sel:DWORD dst_unused:UNUSED_PAD src0_sel:BYTE_1
	v_pack_b32_f16 v192, v192, v196
	v_lshrrev_b32_e32 v196, 16, v198
	v_cvt_f16_i16_sdwa v197, sext(v196) dst_sel:DWORD dst_unused:UNUSED_PAD src0_sel:BYTE_0
	v_cvt_f16_i16_sdwa v196, sext(v196) dst_sel:DWORD dst_unused:UNUSED_PAD src0_sel:BYTE_1
	v_pack_b32_f16 v196, v197, v196
	s_waitcnt vmcnt(10)
	v_pk_mul_f16 v192, v192, v199 op_sel_hi:[1,0]
	v_pk_mul_f16 v196, v199, v196 op_sel_hi:[0,1]
	v_pk_fma_f16 v13, v193, v192, v13 op_sel_hi:[0,1,1]
	v_pk_fma_f16 v188, v193, v196, v188 op_sel_hi:[0,1,1]
	s_waitcnt vmcnt(9)
	v_cvt_f16_i16_sdwa v192, sext(v202) dst_sel:DWORD dst_unused:UNUSED_PAD src0_sel:BYTE_0
	v_cvt_f16_i16_sdwa v196, sext(v202) dst_sel:DWORD dst_unused:UNUSED_PAD src0_sel:BYTE_1
	v_pack_b32_f16 v192, v192, v196
	v_lshrrev_b32_e32 v196, 16, v202
	v_cvt_f16_i16_sdwa v197, sext(v196) dst_sel:DWORD dst_unused:UNUSED_PAD src0_sel:BYTE_0
	v_cvt_f16_i16_sdwa v196, sext(v196) dst_sel:DWORD dst_unused:UNUSED_PAD src0_sel:BYTE_1
	v_pack_b32_f16 v196, v197, v196
	s_waitcnt vmcnt(8)
	v_pk_mul_f16 v192, v192, v203 op_sel_hi:[1,0]
	v_pk_mul_f16 v196, v203, v196 op_sel_hi:[0,1]
	v_pk_fma_f16 v13, v193, v192, v13 op_sel:[1,0,0]
	v_pk_fma_f16 v188, v193, v196, v188 op_sel:[1,0,0]
	s_waitcnt vmcnt(7)
	v_cvt_f16_i16_sdwa v192, sext(v204) dst_sel:DWORD dst_unused:UNUSED_PAD src0_sel:BYTE_0
	v_cvt_f16_i16_sdwa v193, sext(v204) dst_sel:DWORD dst_unused:UNUSED_PAD src0_sel:BYTE_1
	v_pack_b32_f16 v192, v192, v193
	v_lshrrev_b32_e32 v193, 16, v204
	v_cvt_f16_i16_sdwa v196, sext(v193) dst_sel:DWORD dst_unused:UNUSED_PAD src0_sel:BYTE_0
	v_cvt_f16_i16_sdwa v193, sext(v193) dst_sel:DWORD dst_unused:UNUSED_PAD src0_sel:BYTE_1
	v_pack_b32_f16 v193, v196, v193
	s_waitcnt vmcnt(6)
	v_pk_mul_f16 v192, v192, v205 op_sel_hi:[1,0]
	v_pk_mul_f16 v193, v205, v193 op_sel_hi:[0,1]
	v_pk_fma_f16 v13, v194, v192, v13 op_sel_hi:[0,1,1]
	v_pk_fma_f16 v188, v194, v193, v188 op_sel_hi:[0,1,1]
	s_waitcnt vmcnt(5)
	v_cvt_f16_i16_sdwa v192, sext(v206) dst_sel:DWORD dst_unused:UNUSED_PAD src0_sel:BYTE_0
	v_cvt_f16_i16_sdwa v193, sext(v206) dst_sel:DWORD dst_unused:UNUSED_PAD src0_sel:BYTE_1
	v_pack_b32_f16 v192, v192, v193
	v_lshrrev_b32_e32 v193, 16, v206
	;; [unrolled: 26-line block ×3, first 2 shown]
	v_cvt_f16_i16_sdwa v194, sext(v193) dst_sel:DWORD dst_unused:UNUSED_PAD src0_sel:BYTE_0
	v_cvt_f16_i16_sdwa v193, sext(v193) dst_sel:DWORD dst_unused:UNUSED_PAD src0_sel:BYTE_1
	v_pack_b32_f16 v193, v194, v193
	s_waitcnt vmcnt(0)
	v_pk_mul_f16 v192, v192, v211 op_sel_hi:[1,0]
	v_pk_mul_f16 v193, v211, v193 op_sel_hi:[0,1]
	v_pk_fma_f16 v13, v195, v192, v13 op_sel:[1,0,0]
	v_add_co_u32_e32 v192, vcc, s17, v70
	v_pk_fma_f16 v188, v195, v193, v188 op_sel:[1,0,0]
	v_addc_co_u32_e32 v193, vcc, v71, v190, vcc
	global_load_dword v194, v[192:193], off offset:2
	v_add_co_u32_e32 v192, vcc, s17, v68
	v_addc_co_u32_e32 v193, vcc, v69, v190, vcc
	global_load_ushort v195, v[192:193], off
	v_add_co_u32_e32 v192, vcc, s17, v76
	v_addc_co_u32_e32 v193, vcc, v77, v190, vcc
	global_load_dword v196, v[192:193], off offset:2
	v_add_co_u32_e32 v192, vcc, s17, v74
	v_addc_co_u32_e32 v193, vcc, v75, v190, vcc
	global_load_ushort v197, v[192:193], off
	v_add_co_u32_e32 v192, vcc, s17, v82
	;; [unrolled: 6-line block ×6, first 2 shown]
	v_addc_co_u32_e32 v193, vcc, v155, v190, vcc
	global_load_dword v206, v[192:193], off offset:2
	s_waitcnt vmcnt(12)
	v_cvt_f16_i16_sdwa v192, sext(v194) dst_sel:DWORD dst_unused:UNUSED_PAD src0_sel:BYTE_0
	v_cvt_f16_i16_sdwa v193, sext(v194) dst_sel:DWORD dst_unused:UNUSED_PAD src0_sel:BYTE_1
	v_pack_b32_f16 v207, v192, v193
	v_add_co_u32_e32 v192, vcc, s17, v156
	v_addc_co_u32_e32 v193, vcc, v157, v190, vcc
	global_load_ushort v208, v[192:193], off
	v_add_co_u32_e32 v192, vcc, s17, v150
	v_addc_co_u32_e32 v193, vcc, v151, v190, vcc
	global_load_dword v209, v[192:193], off offset:2
	v_add_co_u32_e32 v192, vcc, s17, v152
	v_addc_co_u32_e32 v193, vcc, v153, v190, vcc
	global_load_ushort v192, v[192:193], off
	v_lshrrev_b32_e32 v193, 16, v194
	v_cvt_f16_i16_sdwa v194, sext(v193) dst_sel:DWORD dst_unused:UNUSED_PAD src0_sel:BYTE_0
	v_cvt_f16_i16_sdwa v193, sext(v193) dst_sel:DWORD dst_unused:UNUSED_PAD src0_sel:BYTE_1
	v_pack_b32_f16 v193, v194, v193
	s_waitcnt vmcnt(14)
	v_pk_mul_f16 v194, v207, v195 op_sel_hi:[1,0]
	v_pk_mul_f16 v193, v195, v193 op_sel_hi:[0,1]
	s_waitcnt lgkmcnt(0)
	v_pk_fma_f16 v13, v8, v194, v13 op_sel_hi:[0,1,1]
	v_pk_fma_f16 v188, v8, v193, v188 op_sel_hi:[0,1,1]
	s_waitcnt vmcnt(13)
	v_cvt_f16_i16_sdwa v193, sext(v196) dst_sel:DWORD dst_unused:UNUSED_PAD src0_sel:BYTE_0
	v_cvt_f16_i16_sdwa v194, sext(v196) dst_sel:DWORD dst_unused:UNUSED_PAD src0_sel:BYTE_1
	v_pack_b32_f16 v193, v193, v194
	v_lshrrev_b32_e32 v194, 16, v196
	v_cvt_f16_i16_sdwa v195, sext(v194) dst_sel:DWORD dst_unused:UNUSED_PAD src0_sel:BYTE_0
	v_cvt_f16_i16_sdwa v194, sext(v194) dst_sel:DWORD dst_unused:UNUSED_PAD src0_sel:BYTE_1
	v_pack_b32_f16 v194, v195, v194
	s_waitcnt vmcnt(12)
	v_pk_mul_f16 v193, v193, v197 op_sel_hi:[1,0]
	v_pk_mul_f16 v194, v197, v194 op_sel_hi:[0,1]
	v_pk_fma_f16 v13, v8, v193, v13 op_sel:[1,0,0]
	v_pk_fma_f16 v8, v8, v194, v188 op_sel:[1,0,0]
	s_waitcnt vmcnt(11)
	v_cvt_f16_i16_sdwa v188, sext(v198) dst_sel:DWORD dst_unused:UNUSED_PAD src0_sel:BYTE_0
	v_cvt_f16_i16_sdwa v193, sext(v198) dst_sel:DWORD dst_unused:UNUSED_PAD src0_sel:BYTE_1
	v_pack_b32_f16 v188, v188, v193
	v_lshrrev_b32_e32 v193, 16, v198
	v_cvt_f16_i16_sdwa v194, sext(v193) dst_sel:DWORD dst_unused:UNUSED_PAD src0_sel:BYTE_0
	v_cvt_f16_i16_sdwa v193, sext(v193) dst_sel:DWORD dst_unused:UNUSED_PAD src0_sel:BYTE_1
	v_pack_b32_f16 v193, v194, v193
	s_waitcnt vmcnt(10)
	v_pk_mul_f16 v188, v188, v199 op_sel_hi:[1,0]
	v_pk_mul_f16 v193, v199, v193 op_sel_hi:[0,1]
	v_pk_fma_f16 v13, v9, v188, v13 op_sel_hi:[0,1,1]
	v_pk_fma_f16 v8, v9, v193, v8 op_sel_hi:[0,1,1]
	s_waitcnt vmcnt(9)
	v_cvt_f16_i16_sdwa v188, sext(v200) dst_sel:DWORD dst_unused:UNUSED_PAD src0_sel:BYTE_0
	v_cvt_f16_i16_sdwa v193, sext(v200) dst_sel:DWORD dst_unused:UNUSED_PAD src0_sel:BYTE_1
	v_pack_b32_f16 v188, v188, v193
	v_lshrrev_b32_e32 v193, 16, v200
	v_cvt_f16_i16_sdwa v194, sext(v193) dst_sel:DWORD dst_unused:UNUSED_PAD src0_sel:BYTE_0
	v_cvt_f16_i16_sdwa v193, sext(v193) dst_sel:DWORD dst_unused:UNUSED_PAD src0_sel:BYTE_1
	v_pack_b32_f16 v193, v194, v193
	s_waitcnt vmcnt(8)
	v_pk_mul_f16 v188, v188, v201 op_sel_hi:[1,0]
	v_pk_mul_f16 v193, v201, v193 op_sel_hi:[0,1]
	v_pk_fma_f16 v13, v9, v188, v13 op_sel:[1,0,0]
	v_pk_fma_f16 v8, v9, v193, v8 op_sel:[1,0,0]
	s_waitcnt vmcnt(7)
	v_cvt_f16_i16_sdwa v9, sext(v202) dst_sel:DWORD dst_unused:UNUSED_PAD src0_sel:BYTE_0
	v_cvt_f16_i16_sdwa v188, sext(v202) dst_sel:DWORD dst_unused:UNUSED_PAD src0_sel:BYTE_1
	v_pack_b32_f16 v9, v9, v188
	v_lshrrev_b32_e32 v188, 16, v202
	v_cvt_f16_i16_sdwa v193, sext(v188) dst_sel:DWORD dst_unused:UNUSED_PAD src0_sel:BYTE_0
	v_cvt_f16_i16_sdwa v188, sext(v188) dst_sel:DWORD dst_unused:UNUSED_PAD src0_sel:BYTE_1
	v_pack_b32_f16 v188, v193, v188
	s_waitcnt vmcnt(6)
	v_pk_mul_f16 v9, v9, v203 op_sel_hi:[1,0]
	v_pk_mul_f16 v188, v203, v188 op_sel_hi:[0,1]
	v_pk_fma_f16 v9, v10, v9, v13 op_sel_hi:[0,1,1]
	v_pk_fma_f16 v8, v10, v188, v8 op_sel_hi:[0,1,1]
	s_waitcnt vmcnt(5)
	v_cvt_f16_i16_sdwa v13, sext(v204) dst_sel:DWORD dst_unused:UNUSED_PAD src0_sel:BYTE_0
	v_cvt_f16_i16_sdwa v188, sext(v204) dst_sel:DWORD dst_unused:UNUSED_PAD src0_sel:BYTE_1
	v_pack_b32_f16 v13, v13, v188
	v_lshrrev_b32_e32 v188, 16, v204
	v_cvt_f16_i16_sdwa v193, sext(v188) dst_sel:DWORD dst_unused:UNUSED_PAD src0_sel:BYTE_0
	v_cvt_f16_i16_sdwa v188, sext(v188) dst_sel:DWORD dst_unused:UNUSED_PAD src0_sel:BYTE_1
	v_pack_b32_f16 v188, v193, v188
	s_waitcnt vmcnt(4)
	v_pk_mul_f16 v13, v13, v205 op_sel_hi:[1,0]
	v_pk_mul_f16 v188, v205, v188 op_sel_hi:[0,1]
	v_pk_fma_f16 v9, v10, v13, v9 op_sel:[1,0,0]
	v_pk_fma_f16 v8, v10, v188, v8 op_sel:[1,0,0]
	s_waitcnt vmcnt(3)
	v_cvt_f16_i16_sdwa v10, sext(v206) dst_sel:DWORD dst_unused:UNUSED_PAD src0_sel:BYTE_0
	v_cvt_f16_i16_sdwa v13, sext(v206) dst_sel:DWORD dst_unused:UNUSED_PAD src0_sel:BYTE_1
	v_pack_b32_f16 v10, v10, v13
	v_lshrrev_b32_e32 v13, 16, v206
	v_cvt_f16_i16_sdwa v188, sext(v13) dst_sel:DWORD dst_unused:UNUSED_PAD src0_sel:BYTE_0
	v_cvt_f16_i16_sdwa v13, sext(v13) dst_sel:DWORD dst_unused:UNUSED_PAD src0_sel:BYTE_1
	v_pack_b32_f16 v13, v188, v13
	s_waitcnt vmcnt(2)
	v_pk_mul_f16 v10, v10, v208 op_sel_hi:[1,0]
	v_pk_mul_f16 v13, v208, v13 op_sel_hi:[0,1]
	v_pk_fma_f16 v9, v11, v10, v9 op_sel_hi:[0,1,1]
	v_pk_fma_f16 v8, v11, v13, v8 op_sel_hi:[0,1,1]
	s_waitcnt vmcnt(1)
	v_cvt_f16_i16_sdwa v10, sext(v209) dst_sel:DWORD dst_unused:UNUSED_PAD src0_sel:BYTE_0
	v_cvt_f16_i16_sdwa v13, sext(v209) dst_sel:DWORD dst_unused:UNUSED_PAD src0_sel:BYTE_1
	v_pack_b32_f16 v10, v10, v13
	v_lshrrev_b32_e32 v13, 16, v209
	v_cvt_f16_i16_sdwa v188, sext(v13) dst_sel:DWORD dst_unused:UNUSED_PAD src0_sel:BYTE_0
	v_cvt_f16_i16_sdwa v13, sext(v13) dst_sel:DWORD dst_unused:UNUSED_PAD src0_sel:BYTE_1
	v_pack_b32_f16 v13, v188, v13
	s_waitcnt vmcnt(0)
	v_pk_mul_f16 v13, v192, v13 op_sel_hi:[0,1]
	v_pk_mul_f16 v10, v10, v192 op_sel_hi:[1,0]
	v_pk_fma_f16 v13, v11, v13, v8 op_sel:[1,0,0]
	v_add_co_u32_e32 v8, vcc, s17, v146
	v_pk_fma_f16 v188, v11, v10, v9 op_sel:[1,0,0]
	v_addc_co_u32_e32 v9, vcc, v147, v190, vcc
	global_load_dword v10, v[8:9], off offset:2
	v_add_co_u32_e32 v8, vcc, s17, v148
	v_addc_co_u32_e32 v9, vcc, v149, v190, vcc
	global_load_ushort v11, v[8:9], off
	v_add_co_u32_e32 v8, vcc, s17, v142
	v_addc_co_u32_e32 v9, vcc, v143, v190, vcc
	global_load_dword v196, v[8:9], off offset:2
	s_waitcnt vmcnt(2)
	v_cvt_f16_i16_sdwa v8, sext(v10) dst_sel:DWORD dst_unused:UNUSED_PAD src0_sel:BYTE_0
	v_cvt_f16_i16_sdwa v9, sext(v10) dst_sel:DWORD dst_unused:UNUSED_PAD src0_sel:BYTE_1
	v_pack_b32_f16 v192, v8, v9
	v_add_co_u32_e32 v8, vcc, s17, v144
	v_addc_co_u32_e32 v9, vcc, v145, v190, vcc
	global_load_ushort v197, v[8:9], off
	v_add_co_u32_e32 v8, vcc, s17, v138
	v_addc_co_u32_e32 v9, vcc, v139, v190, vcc
	global_load_dword v198, v[8:9], off offset:2
	v_add_co_u32_e32 v8, vcc, s17, v140
	v_addc_co_u32_e32 v9, vcc, v141, v190, vcc
	global_load_ushort v199, v[8:9], off
	v_add_co_u32_e32 v8, vcc, s17, v134
	v_addc_co_u32_e32 v9, vcc, v135, v190, vcc
	global_load_dword v200, v[8:9], off offset:2
	;; [unrolled: 6-line block ×4, first 2 shown]
	v_lshrrev_b32_e32 v8, 16, v10
	v_cvt_f16_i16_sdwa v9, sext(v8) dst_sel:DWORD dst_unused:UNUSED_PAD src0_sel:BYTE_0
	v_cvt_f16_i16_sdwa v8, sext(v8) dst_sel:DWORD dst_unused:UNUSED_PAD src0_sel:BYTE_1
	v_pack_b32_f16 v10, v9, v8
	v_add_co_u32_e32 v8, vcc, s17, v128
	v_addc_co_u32_e32 v9, vcc, v129, v190, vcc
	global_load_ushort v205, v[8:9], off
	v_add_co_u32_e32 v8, vcc, s17, v122
	v_addc_co_u32_e32 v9, vcc, v123, v190, vcc
	global_load_dword v206, v[8:9], off offset:2
	v_add_co_u32_e32 v8, vcc, s17, v124
	v_addc_co_u32_e32 v9, vcc, v125, v190, vcc
	global_load_ushort v207, v[8:9], off
	v_add_co_u32_e32 v8, vcc, s17, v118
	v_addc_co_u32_e32 v9, vcc, v119, v190, vcc
	global_load_dword v208, v[8:9], off offset:2
	v_add_co_u32_e32 v8, vcc, s17, v120
	v_addc_co_u32_e32 v9, vcc, v121, v190, vcc
	global_load_ushort v211, v[8:9], off
	s_waitcnt vmcnt(14)
	v_pk_mul_f16 v209, v192, v11 op_sel_hi:[1,0]
	v_pk_mul_f16 v210, v11, v10 op_sel_hi:[0,1]
	ds_read_b128 v[192:195], v180 offset:32
	ds_read_b128 v[8:11], v180 offset:48
	s_waitcnt lgkmcnt(1)
	v_pk_fma_f16 v188, v192, v209, v188 op_sel_hi:[0,1,1]
	v_pk_fma_f16 v13, v192, v210, v13 op_sel_hi:[0,1,1]
	s_waitcnt vmcnt(13)
	v_cvt_f16_i16_sdwa v209, sext(v196) dst_sel:DWORD dst_unused:UNUSED_PAD src0_sel:BYTE_0
	v_cvt_f16_i16_sdwa v210, sext(v196) dst_sel:DWORD dst_unused:UNUSED_PAD src0_sel:BYTE_1
	v_lshrrev_b32_e32 v196, 16, v196
	v_pack_b32_f16 v209, v209, v210
	v_cvt_f16_i16_sdwa v210, sext(v196) dst_sel:DWORD dst_unused:UNUSED_PAD src0_sel:BYTE_0
	v_cvt_f16_i16_sdwa v196, sext(v196) dst_sel:DWORD dst_unused:UNUSED_PAD src0_sel:BYTE_1
	v_pack_b32_f16 v196, v210, v196
	s_waitcnt vmcnt(12)
	v_pk_mul_f16 v209, v209, v197 op_sel_hi:[1,0]
	v_pk_mul_f16 v196, v197, v196 op_sel_hi:[0,1]
	v_pk_fma_f16 v188, v192, v209, v188 op_sel:[1,0,0]
	v_pk_fma_f16 v13, v192, v196, v13 op_sel:[1,0,0]
	s_waitcnt vmcnt(11)
	v_cvt_f16_i16_sdwa v192, sext(v198) dst_sel:DWORD dst_unused:UNUSED_PAD src0_sel:BYTE_0
	v_cvt_f16_i16_sdwa v196, sext(v198) dst_sel:DWORD dst_unused:UNUSED_PAD src0_sel:BYTE_1
	v_pack_b32_f16 v192, v192, v196
	v_lshrrev_b32_e32 v196, 16, v198
	v_cvt_f16_i16_sdwa v197, sext(v196) dst_sel:DWORD dst_unused:UNUSED_PAD src0_sel:BYTE_0
	v_cvt_f16_i16_sdwa v196, sext(v196) dst_sel:DWORD dst_unused:UNUSED_PAD src0_sel:BYTE_1
	v_pack_b32_f16 v196, v197, v196
	s_waitcnt vmcnt(10)
	v_pk_mul_f16 v192, v192, v199 op_sel_hi:[1,0]
	v_pk_mul_f16 v196, v199, v196 op_sel_hi:[0,1]
	v_pk_fma_f16 v188, v193, v192, v188 op_sel_hi:[0,1,1]
	v_pk_fma_f16 v13, v193, v196, v13 op_sel_hi:[0,1,1]
	s_waitcnt vmcnt(9)
	v_cvt_f16_i16_sdwa v192, sext(v200) dst_sel:DWORD dst_unused:UNUSED_PAD src0_sel:BYTE_0
	v_cvt_f16_i16_sdwa v196, sext(v200) dst_sel:DWORD dst_unused:UNUSED_PAD src0_sel:BYTE_1
	v_pack_b32_f16 v192, v192, v196
	v_lshrrev_b32_e32 v196, 16, v200
	v_cvt_f16_i16_sdwa v197, sext(v196) dst_sel:DWORD dst_unused:UNUSED_PAD src0_sel:BYTE_0
	v_cvt_f16_i16_sdwa v196, sext(v196) dst_sel:DWORD dst_unused:UNUSED_PAD src0_sel:BYTE_1
	v_pack_b32_f16 v196, v197, v196
	s_waitcnt vmcnt(8)
	v_pk_mul_f16 v192, v192, v201 op_sel_hi:[1,0]
	v_pk_mul_f16 v196, v201, v196 op_sel_hi:[0,1]
	v_pk_fma_f16 v188, v193, v192, v188 op_sel:[1,0,0]
	v_pk_fma_f16 v13, v193, v196, v13 op_sel:[1,0,0]
	s_waitcnt vmcnt(7)
	v_cvt_f16_i16_sdwa v192, sext(v202) dst_sel:DWORD dst_unused:UNUSED_PAD src0_sel:BYTE_0
	v_cvt_f16_i16_sdwa v193, sext(v202) dst_sel:DWORD dst_unused:UNUSED_PAD src0_sel:BYTE_1
	v_pack_b32_f16 v192, v192, v193
	v_lshrrev_b32_e32 v193, 16, v202
	v_cvt_f16_i16_sdwa v196, sext(v193) dst_sel:DWORD dst_unused:UNUSED_PAD src0_sel:BYTE_0
	v_cvt_f16_i16_sdwa v193, sext(v193) dst_sel:DWORD dst_unused:UNUSED_PAD src0_sel:BYTE_1
	v_pack_b32_f16 v193, v196, v193
	s_waitcnt vmcnt(6)
	v_pk_mul_f16 v192, v192, v203 op_sel_hi:[1,0]
	v_pk_mul_f16 v193, v203, v193 op_sel_hi:[0,1]
	v_pk_fma_f16 v188, v194, v192, v188 op_sel_hi:[0,1,1]
	v_pk_fma_f16 v13, v194, v193, v13 op_sel_hi:[0,1,1]
	s_waitcnt vmcnt(5)
	v_cvt_f16_i16_sdwa v192, sext(v204) dst_sel:DWORD dst_unused:UNUSED_PAD src0_sel:BYTE_0
	v_cvt_f16_i16_sdwa v193, sext(v204) dst_sel:DWORD dst_unused:UNUSED_PAD src0_sel:BYTE_1
	v_pack_b32_f16 v192, v192, v193
	v_lshrrev_b32_e32 v193, 16, v204
	v_cvt_f16_i16_sdwa v196, sext(v193) dst_sel:DWORD dst_unused:UNUSED_PAD src0_sel:BYTE_0
	v_cvt_f16_i16_sdwa v193, sext(v193) dst_sel:DWORD dst_unused:UNUSED_PAD src0_sel:BYTE_1
	v_pack_b32_f16 v193, v196, v193
	s_waitcnt vmcnt(4)
	v_pk_mul_f16 v192, v192, v205 op_sel_hi:[1,0]
	v_pk_mul_f16 v193, v205, v193 op_sel_hi:[0,1]
	v_pk_fma_f16 v188, v194, v192, v188 op_sel:[1,0,0]
	v_pk_fma_f16 v13, v194, v193, v13 op_sel:[1,0,0]
	s_waitcnt vmcnt(3)
	v_cvt_f16_i16_sdwa v192, sext(v206) dst_sel:DWORD dst_unused:UNUSED_PAD src0_sel:BYTE_0
	v_cvt_f16_i16_sdwa v193, sext(v206) dst_sel:DWORD dst_unused:UNUSED_PAD src0_sel:BYTE_1
	v_pack_b32_f16 v192, v192, v193
	v_lshrrev_b32_e32 v193, 16, v206
	v_cvt_f16_i16_sdwa v194, sext(v193) dst_sel:DWORD dst_unused:UNUSED_PAD src0_sel:BYTE_0
	v_cvt_f16_i16_sdwa v193, sext(v193) dst_sel:DWORD dst_unused:UNUSED_PAD src0_sel:BYTE_1
	v_pack_b32_f16 v193, v194, v193
	s_waitcnt vmcnt(2)
	v_pk_mul_f16 v192, v192, v207 op_sel_hi:[1,0]
	v_pk_mul_f16 v193, v207, v193 op_sel_hi:[0,1]
	v_pk_fma_f16 v188, v195, v192, v188 op_sel_hi:[0,1,1]
	v_pk_fma_f16 v13, v195, v193, v13 op_sel_hi:[0,1,1]
	s_waitcnt vmcnt(1)
	v_cvt_f16_i16_sdwa v192, sext(v208) dst_sel:DWORD dst_unused:UNUSED_PAD src0_sel:BYTE_0
	v_cvt_f16_i16_sdwa v193, sext(v208) dst_sel:DWORD dst_unused:UNUSED_PAD src0_sel:BYTE_1
	v_pack_b32_f16 v192, v192, v193
	v_lshrrev_b32_e32 v193, 16, v208
	v_cvt_f16_i16_sdwa v194, sext(v193) dst_sel:DWORD dst_unused:UNUSED_PAD src0_sel:BYTE_0
	v_cvt_f16_i16_sdwa v193, sext(v193) dst_sel:DWORD dst_unused:UNUSED_PAD src0_sel:BYTE_1
	v_pack_b32_f16 v193, v194, v193
	s_waitcnt vmcnt(0)
	v_pk_mul_f16 v192, v192, v211 op_sel_hi:[1,0]
	v_pk_mul_f16 v193, v211, v193 op_sel_hi:[0,1]
	v_pk_fma_f16 v188, v195, v192, v188 op_sel:[1,0,0]
	v_add_co_u32_e32 v192, vcc, s17, v114
	v_pk_fma_f16 v194, v195, v193, v13 op_sel:[1,0,0]
	v_addc_co_u32_e32 v193, vcc, v115, v190, vcc
	global_load_dword v195, v[192:193], off offset:2
	v_add_co_u32_e32 v192, vcc, s17, v116
	v_addc_co_u32_e32 v193, vcc, v117, v190, vcc
	global_load_ushort v196, v[192:193], off
	v_add_co_u32_e32 v192, vcc, s17, v110
	v_addc_co_u32_e32 v193, vcc, v111, v190, vcc
	global_load_dword v197, v[192:193], off offset:2
	v_add_co_u32_e32 v192, vcc, s17, v112
	v_addc_co_u32_e32 v193, vcc, v113, v190, vcc
	global_load_ushort v198, v[192:193], off
	v_add_co_u32_e32 v192, vcc, s17, v106
	;; [unrolled: 6-line block ×8, first 2 shown]
	s_waitcnt vmcnt(15)
	v_cvt_f16_i16_sdwa v13, sext(v195) dst_sel:DWORD dst_unused:UNUSED_PAD src0_sel:BYTE_0
	v_cvt_f16_i16_sdwa v192, sext(v195) dst_sel:DWORD dst_unused:UNUSED_PAD src0_sel:BYTE_1
	v_pack_b32_f16 v13, v13, v192
	s_waitcnt vmcnt(14)
	v_pk_mul_f16 v13, v13, v196 op_sel_hi:[1,0]
	s_waitcnt lgkmcnt(0)
	v_pk_fma_f16 v13, v8, v13, v188 op_sel_hi:[0,1,1]
	s_waitcnt vmcnt(13)
	v_cvt_f16_i16_sdwa v188, sext(v197) dst_sel:DWORD dst_unused:UNUSED_PAD src0_sel:BYTE_0
	v_cvt_f16_i16_sdwa v192, sext(v197) dst_sel:DWORD dst_unused:UNUSED_PAD src0_sel:BYTE_1
	v_pack_b32_f16 v188, v188, v192
	s_waitcnt vmcnt(12)
	v_pk_mul_f16 v188, v188, v198 op_sel_hi:[1,0]
	v_pk_fma_f16 v13, v8, v188, v13 op_sel:[1,0,0]
	s_waitcnt vmcnt(11)
	v_cvt_f16_i16_sdwa v188, sext(v199) dst_sel:DWORD dst_unused:UNUSED_PAD src0_sel:BYTE_0
	v_cvt_f16_i16_sdwa v192, sext(v199) dst_sel:DWORD dst_unused:UNUSED_PAD src0_sel:BYTE_1
	v_pack_b32_f16 v188, v188, v192
	s_waitcnt vmcnt(10)
	v_pk_mul_f16 v188, v188, v200 op_sel_hi:[1,0]
	v_pk_fma_f16 v13, v9, v188, v13 op_sel_hi:[0,1,1]
	s_waitcnt vmcnt(9)
	v_cvt_f16_i16_sdwa v188, sext(v201) dst_sel:DWORD dst_unused:UNUSED_PAD src0_sel:BYTE_0
	v_cvt_f16_i16_sdwa v192, sext(v201) dst_sel:DWORD dst_unused:UNUSED_PAD src0_sel:BYTE_1
	v_pack_b32_f16 v188, v188, v192
	s_waitcnt vmcnt(8)
	v_pk_mul_f16 v188, v188, v202 op_sel_hi:[1,0]
	v_pk_fma_f16 v13, v9, v188, v13 op_sel:[1,0,0]
	s_waitcnt vmcnt(7)
	v_cvt_f16_i16_sdwa v188, sext(v203) dst_sel:DWORD dst_unused:UNUSED_PAD src0_sel:BYTE_0
	v_cvt_f16_i16_sdwa v192, sext(v203) dst_sel:DWORD dst_unused:UNUSED_PAD src0_sel:BYTE_1
	v_pack_b32_f16 v188, v188, v192
	s_waitcnt vmcnt(6)
	v_pk_mul_f16 v188, v188, v204 op_sel_hi:[1,0]
	;; [unrolled: 14-line block ×3, first 2 shown]
	v_pk_fma_f16 v13, v11, v188, v13 op_sel_hi:[0,1,1]
	s_waitcnt vmcnt(1)
	v_cvt_f16_i16_sdwa v188, sext(v209) dst_sel:DWORD dst_unused:UNUSED_PAD src0_sel:BYTE_0
	v_cvt_f16_i16_sdwa v192, sext(v209) dst_sel:DWORD dst_unused:UNUSED_PAD src0_sel:BYTE_1
	v_pack_b32_f16 v188, v188, v192
	s_waitcnt vmcnt(0)
	v_pk_mul_f16 v188, v188, v190 op_sel_hi:[1,0]
	v_pk_fma_f16 v13, v11, v188, v13 op_sel:[1,0,0]
	v_lshrrev_b32_e32 v188, 16, v195
	v_cvt_f16_i16_sdwa v192, sext(v188) dst_sel:DWORD dst_unused:UNUSED_PAD src0_sel:BYTE_0
	v_cvt_f16_i16_sdwa v188, sext(v188) dst_sel:DWORD dst_unused:UNUSED_PAD src0_sel:BYTE_1
	v_pack_b32_f16 v188, v192, v188
	v_lshrrev_b32_e32 v192, 16, v197
	v_cvt_f16_i16_sdwa v193, sext(v192) dst_sel:DWORD dst_unused:UNUSED_PAD src0_sel:BYTE_0
	v_cvt_f16_i16_sdwa v192, sext(v192) dst_sel:DWORD dst_unused:UNUSED_PAD src0_sel:BYTE_1
	v_pk_mul_f16 v188, v196, v188 op_sel_hi:[0,1]
	v_pack_b32_f16 v192, v193, v192
	v_pk_fma_f16 v188, v8, v188, v194 op_sel_hi:[0,1,1]
	v_pk_mul_f16 v192, v198, v192 op_sel_hi:[0,1]
	v_pk_fma_f16 v8, v8, v192, v188 op_sel:[1,0,0]
	v_lshrrev_b32_e32 v188, 16, v199
	v_cvt_f16_i16_sdwa v192, sext(v188) dst_sel:DWORD dst_unused:UNUSED_PAD src0_sel:BYTE_0
	v_cvt_f16_i16_sdwa v188, sext(v188) dst_sel:DWORD dst_unused:UNUSED_PAD src0_sel:BYTE_1
	v_pack_b32_f16 v188, v192, v188
	v_pk_mul_f16 v188, v200, v188 op_sel_hi:[0,1]
	v_pk_fma_f16 v8, v9, v188, v8 op_sel_hi:[0,1,1]
	v_lshrrev_b32_e32 v188, 16, v201
	v_cvt_f16_i16_sdwa v192, sext(v188) dst_sel:DWORD dst_unused:UNUSED_PAD src0_sel:BYTE_0
	v_cvt_f16_i16_sdwa v188, sext(v188) dst_sel:DWORD dst_unused:UNUSED_PAD src0_sel:BYTE_1
	v_pack_b32_f16 v188, v192, v188
	v_pk_mul_f16 v188, v202, v188 op_sel_hi:[0,1]
	v_pk_fma_f16 v8, v9, v188, v8 op_sel:[1,0,0]
	v_lshrrev_b32_e32 v9, 16, v203
	v_cvt_f16_i16_sdwa v188, sext(v9) dst_sel:DWORD dst_unused:UNUSED_PAD src0_sel:BYTE_0
	v_cvt_f16_i16_sdwa v9, sext(v9) dst_sel:DWORD dst_unused:UNUSED_PAD src0_sel:BYTE_1
	v_pack_b32_f16 v9, v188, v9
	v_pk_mul_f16 v9, v204, v9 op_sel_hi:[0,1]
	v_pk_fma_f16 v8, v10, v9, v8 op_sel_hi:[0,1,1]
	v_lshrrev_b32_e32 v9, 16, v205
	v_cvt_f16_i16_sdwa v188, sext(v9) dst_sel:DWORD dst_unused:UNUSED_PAD src0_sel:BYTE_0
	v_cvt_f16_i16_sdwa v9, sext(v9) dst_sel:DWORD dst_unused:UNUSED_PAD src0_sel:BYTE_1
	v_pack_b32_f16 v9, v188, v9
	;; [unrolled: 12-line block ×3, first 2 shown]
	v_pk_mul_f16 v9, v190, v9 op_sel_hi:[0,1]
	v_pk_fma_f16 v188, v11, v9, v8 op_sel:[1,0,0]
	v_mov_b32_e32 v8, s23
	v_addc_co_u32_e32 v23, vcc, v23, v8, vcc
	v_mov_b32_e32 v8, s44
	v_add_co_u32_e32 v24, vcc, s39, v24
	v_addc_co_u32_e32 v25, vcc, v25, v8, vcc
	v_add_co_u32_e32 v26, vcc, s39, v26
	v_addc_co_u32_e32 v27, vcc, v27, v8, vcc
	v_add_co_u32_e32 v36, vcc, s39, v36
	v_addc_co_u32_e32 v37, vcc, v37, v8, vcc
	v_add_co_u32_e32 v38, vcc, s39, v38
	v_addc_co_u32_e32 v39, vcc, v39, v8, vcc
	v_add_co_u32_e32 v54, vcc, s39, v54
	v_addc_co_u32_e32 v55, vcc, v55, v8, vcc
	v_add_co_u32_e32 v56, vcc, s39, v56
	v_addc_co_u32_e32 v57, vcc, v57, v8, vcc
	v_add_co_u32_e32 v72, vcc, s39, v72
	v_addc_co_u32_e32 v73, vcc, v73, v8, vcc
	v_add_co_u32_e32 v80, vcc, s39, v80
	v_addc_co_u32_e32 v81, vcc, v81, v8, vcc
	v_mov_b32_e32 v8, s48
	v_add_co_u32_e32 v28, vcc, s38, v28
	v_addc_co_u32_e32 v29, vcc, v29, v8, vcc
	v_add_co_u32_e32 v30, vcc, s38, v30
	v_addc_co_u32_e32 v31, vcc, v31, v8, vcc
	;; [unrolled: 2-line block ×64, first 2 shown]
	s_cbranch_scc1 .LBB18_37
; %bb.36:                               ;   in Loop: Header=BB18_11 Depth=1
	v_mov_b32_e32 v8, v189
	s_branch .LBB18_11
.LBB18_37:
	s_cmp_lg_u64 s[24:25], 0
	v_or_b32_e32 v0, s7, v168
	s_cselect_b64 s[2:3], -1, 0
	v_cmp_eq_u32_e32 vcc, 0, v0
	s_and_b64 s[8:9], vcc, s[2:3]
	s_and_saveexec_b64 s[2:3], s[8:9]
	s_cbranch_execz .LBB18_39
; %bb.38:
	s_lshl_b64 s[8:9], s[40:41], 2
	s_add_u32 s8, s24, s8
	s_addc_u32 s9, s25, s9
	s_load_dword s8, s[8:9], 0x0
	v_max_f32_e32 v0, v189, v189
	s_mov_b32 s9, 0x3fb8aa3b
	s_mov_b32 s10, 0xc2ce8ed0
	;; [unrolled: 1-line block ×3, first 2 shown]
	s_waitcnt lgkmcnt(0)
	v_max_f32_e64 v1, s8, s8
	v_max_f32_e32 v0, v1, v0
	v_sub_f32_e32 v1, v189, v0
	v_mul_f32_e32 v2, 0x3fb8aa3b, v1
	v_fma_f32 v3, v1, s9, -v2
	v_rndne_f32_e32 v4, v2
	v_fmac_f32_e32 v3, 0x32a5705f, v1
	v_sub_f32_e32 v2, v2, v4
	v_add_f32_e32 v2, v2, v3
	v_cvt_i32_f32_e32 v3, v4
	v_exp_f32_e32 v2, v2
	v_cmp_ngt_f32_e32 vcc, s10, v1
	v_mov_b32_e32 v189, v0
	v_ldexp_f32 v2, v2, v3
	v_sub_f32_e32 v3, s8, v0
	v_mul_f32_e32 v4, 0x3fb8aa3b, v3
	v_fma_f32 v5, v3, s9, -v4
	v_rndne_f32_e32 v6, v4
	v_fmac_f32_e32 v5, 0x32a5705f, v3
	v_sub_f32_e32 v4, v4, v6
	v_add_f32_e32 v4, v4, v5
	v_exp_f32_e32 v4, v4
	v_cvt_i32_f32_e32 v5, v6
	v_cndmask_b32_e32 v2, 0, v2, vcc
	v_mov_b32_e32 v6, 0x7f800000
	v_cmp_nlt_f32_e32 vcc, s11, v1
	v_cndmask_b32_e32 v1, v6, v2, vcc
	v_ldexp_f32 v2, v4, v5
	v_cmp_ngt_f32_e32 vcc, s10, v3
	v_cndmask_b32_e32 v2, 0, v2, vcc
	v_cvt_f16_f32_e32 v4, v1
	v_cmp_nlt_f32_e32 vcc, s11, v3
	v_cndmask_b32_e32 v2, v6, v2, vcc
	v_cmp_eq_u32_e32 vcc, 0, v169
	v_cndmask_b32_e32 v2, 0, v2, vcc
	v_fmac_f32_e32 v2, v181, v1
	v_pk_mul_f16 v13, v4, v13 op_sel_hi:[0,1]
	v_pk_mul_f16 v188, v4, v188 op_sel_hi:[0,1]
	v_mov_b32_e32 v181, v2
.LBB18_39:
	s_or_b64 exec, exec, s[2:3]
	s_and_saveexec_b64 s[2:3], s[0:1]
	s_cbranch_execz .LBB18_41
; %bb.40:
	v_mov_b32_e32 v0, 0xfeffffff
	v_mov_b32_e32 v1, 0
	v_add_u32_e32 v2, 0x400, v174
	ds_write2_b32 v2, v0, v1 offset1:32
.LBB18_41:
	s_or_b64 exec, exec, s[2:3]
	v_cmp_eq_u32_e32 vcc, 0, v169
	v_lshlrev_b32_e32 v1, 2, v168
	s_waitcnt lgkmcnt(0)
	s_barrier
	s_and_saveexec_b64 s[0:1], vcc
	s_cbranch_execz .LBB18_43
; %bb.42:
	ds_write_b32 v1, v189 offset:1024
.LBB18_43:
	s_or_b64 exec, exec, s[0:1]
	v_mbcnt_hi_u32_b32 v4, -1, v170
	s_waitcnt lgkmcnt(0)
	s_barrier
	ds_read_b32 v0, v174 offset:1024
	v_and_b32_e32 v2, 0x60, v4
	v_add_u32_e32 v7, 32, v2
	v_xor_b32_e32 v2, 16, v4
	v_cmp_lt_i32_e64 s[0:1], v2, v7
	v_cndmask_b32_e64 v2, v4, v2, s[0:1]
	v_lshlrev_b32_e32 v2, 2, v2
	s_waitcnt lgkmcnt(0)
	ds_bpermute_b32 v3, v2, v0
	v_max_f32_e32 v0, v0, v0
	s_waitcnt lgkmcnt(0)
	v_max_f32_e32 v3, v3, v3
	v_max_f32_e32 v0, v0, v3
	v_xor_b32_e32 v3, 8, v4
	v_cmp_lt_i32_e64 s[0:1], v3, v7
	v_cndmask_b32_e64 v3, v4, v3, s[0:1]
	v_lshlrev_b32_e32 v3, 2, v3
	ds_bpermute_b32 v5, v3, v0
	s_waitcnt lgkmcnt(0)
	v_max_f32_e32 v5, v5, v5
	v_max_f32_e32 v0, v0, v5
	v_xor_b32_e32 v5, 4, v4
	v_cmp_lt_i32_e64 s[0:1], v5, v7
	v_cndmask_b32_e64 v5, v4, v5, s[0:1]
	v_lshlrev_b32_e32 v5, 2, v5
	ds_bpermute_b32 v6, v5, v0
	;; [unrolled: 8-line block ×4, first 2 shown]
	s_mov_b32 s0, 0x3fb8aa3b
	s_waitcnt lgkmcnt(0)
	v_max_f32_e32 v7, v7, v7
	v_max_f32_e32 v0, v0, v7
	v_sub_f32_e32 v7, v189, v0
	v_mul_f32_e32 v8, 0x3fb8aa3b, v7
	v_fma_f32 v9, v7, s0, -v8
	v_rndne_f32_e32 v10, v8
	v_fmac_f32_e32 v9, 0x32a5705f, v7
	v_sub_f32_e32 v8, v8, v10
	v_add_f32_e32 v8, v8, v9
	v_exp_f32_e32 v8, v8
	v_cvt_i32_f32_e32 v9, v10
	s_mov_b32 s0, 0xc2ce8ed0
	v_cmp_ngt_f32_e64 s[0:1], s0, v7
	v_ldexp_f32 v8, v8, v9
	v_cndmask_b32_e64 v8, 0, v8, s[0:1]
	s_mov_b32 s0, 0x42b17218
	v_mov_b32_e32 v9, 0x7f800000
	v_cmp_nlt_f32_e64 s[0:1], s0, v7
	v_cndmask_b32_e64 v7, v9, v8, s[0:1]
	v_mul_f32_e32 v8, v181, v7
	ds_bpermute_b32 v8, v2, v8
	v_cvt_f16_f32_e32 v11, v7
	s_waitcnt lgkmcnt(0)
	v_fmac_f32_e32 v8, v181, v7
	ds_bpermute_b32 v9, v3, v8
	v_pk_mul_f16 v10, v11, v13 op_sel_hi:[0,1]
	v_pk_mul_f16 v11, v11, v188 op_sel_hi:[0,1]
	s_waitcnt lgkmcnt(0)
	v_add_f32_e32 v8, v8, v9
	ds_bpermute_b32 v9, v5, v8
	s_waitcnt lgkmcnt(0)
	v_add_f32_e32 v7, v8, v9
	ds_bpermute_b32 v8, v6, v7
	v_lshlrev_b32_e32 v9, 3, v169
	v_lshl_add_u32 v9, v168, 8, v9
	ds_write_b64 v9, v[10:11]
	s_waitcnt lgkmcnt(1)
	v_add_f32_e32 v7, v7, v8
	ds_bpermute_b32 v8, v4, v7
	s_and_saveexec_b64 s[0:1], vcc
	s_cbranch_execz .LBB18_45
; %bb.44:
	s_waitcnt lgkmcnt(0)
	v_add_f32_e32 v7, v7, v8
	ds_write_b32 v1, v7 offset:1152
.LBB18_45:
	s_or_b64 exec, exec, s[0:1]
	s_waitcnt lgkmcnt(0)
	s_barrier
	ds_read_b32 v1, v174 offset:1152
	ds_read_u16 v12, v173 offset:768
	ds_read_u16 v7, v173
	ds_read_u16 v10, v173 offset:256
	ds_read_u16 v13, v173 offset:512
	s_load_dword s2, s[4:5], 0xd4
	s_mul_i32 s3, s33, s34
	s_waitcnt lgkmcnt(0)
	ds_bpermute_b32 v2, v2, v1
	v_cvt_f32_f16_e32 v8, v7
	v_cvt_f32_f16_e32 v10, v10
	s_cmp_eq_u32 s2, 1
	s_waitcnt lgkmcnt(0)
	v_add_f32_e32 v9, v1, v2
	ds_bpermute_b32 v3, v3, v9
	v_mov_b32_e32 v2, 0
	v_mov_b32_e32 v1, s29
	s_waitcnt lgkmcnt(0)
	v_pk_add_f32 v[8:9], v[8:9], v[2:3]
	ds_bpermute_b32 v11, v5, v9
	s_waitcnt lgkmcnt(0)
	v_pk_add_f32 v[8:9], v[8:9], v[10:11]
	ds_bpermute_b32 v7, v6, v9
	v_cvt_f32_f16_e32 v6, v13
	s_waitcnt lgkmcnt(0)
	v_pk_add_f32 v[6:7], v[8:9], v[6:7]
	ds_bpermute_b32 v5, v4, v7
	v_cvt_f32_f16_e32 v4, v12
	v_mov_b32_e32 v9, v2
	s_waitcnt lgkmcnt(0)
	v_pk_add_f32 v[4:5], v[6:7], v[4:5]
	v_div_scale_f32 v3, s[0:1], v5, v5, v4
	v_rcp_f32_e32 v6, v3
	v_div_scale_f32 v7, vcc, v4, v5, v4
	v_fma_f32 v8, -v3, v6, 1.0
	v_fmac_f32_e32 v6, v8, v6
	v_mul_f32_e32 v8, v7, v6
	v_fma_f32 v10, -v3, v8, v7
	v_fmac_f32_e32 v8, v10, v6
	v_fma_f32 v3, -v3, v8, v7
	v_div_fmas_f32 v3, v3, v6, v8
	s_cselect_b64 vcc, -1, 0
	s_add_i32 s0, s3, s6
	s_mul_i32 s0, s0, s35
	s_add_i32 s0, s0, s40
	s_mul_i32 s0, s2, s0
	s_add_i32 s0, s0, s7
	v_lshl_or_b32 v8, s0, 7, v171
	v_div_fixup_f32 v3, v3, v5, v4
	v_lshlrev_b64 v[6:7], 2, v[8:9]
	v_cndmask_b32_e32 v3, v4, v3, vcc
	v_add_co_u32_e32 v6, vcc, s28, v6
	v_addc_co_u32_e32 v7, vcc, v1, v7, vcc
	s_cmp_lg_u32 s2, 1
	s_cselect_b64 s[2:3], -1, 0
	v_cmp_eq_u32_e32 vcc, 0, v171
	s_and_b64 s[2:3], vcc, s[2:3]
	global_store_dword v[6:7], v3, off
	s_and_saveexec_b64 s[4:5], s[2:3]
	s_cbranch_execz .LBB18_47
; %bb.46:
	s_mov_b32 s1, 0
	s_lshl_b64 s[0:1], s[0:1], 3
	s_add_u32 s0, s30, s0
	s_addc_u32 s1, s31, s1
	v_mov_b32_e32 v1, v5
	global_store_dwordx2 v2, v[0:1], s[0:1]
.LBB18_47:
	s_endpgm
	.section	.rodata,"a",@progbits
	.p2align	6, 0x0
	.amdhsa_kernel _ZL18flash_attn_ext_vecILi128ELi1EL9ggml_type6ELS0_8ELb1EEvPKcS2_S2_S2_S2_PKiPfP15HIP_vector_typeIfLj2EEffffjfiS6_IjLj3EEiiiiiiiiiiiliiliiiiil
		.amdhsa_group_segment_fixed_size 1280
		.amdhsa_private_segment_fixed_size 0
		.amdhsa_kernarg_size 464
		.amdhsa_user_sgpr_count 6
		.amdhsa_user_sgpr_private_segment_buffer 1
		.amdhsa_user_sgpr_dispatch_ptr 0
		.amdhsa_user_sgpr_queue_ptr 0
		.amdhsa_user_sgpr_kernarg_segment_ptr 1
		.amdhsa_user_sgpr_dispatch_id 0
		.amdhsa_user_sgpr_flat_scratch_init 0
		.amdhsa_user_sgpr_kernarg_preload_length 0
		.amdhsa_user_sgpr_kernarg_preload_offset 0
		.amdhsa_user_sgpr_private_segment_size 0
		.amdhsa_uses_dynamic_stack 0
		.amdhsa_system_sgpr_private_segment_wavefront_offset 0
		.amdhsa_system_sgpr_workgroup_id_x 1
		.amdhsa_system_sgpr_workgroup_id_y 1
		.amdhsa_system_sgpr_workgroup_id_z 1
		.amdhsa_system_sgpr_workgroup_info 0
		.amdhsa_system_vgpr_workitem_id 1
		.amdhsa_next_free_vgpr 224
		.amdhsa_next_free_sgpr 63
		.amdhsa_accum_offset 224
		.amdhsa_reserve_vcc 1
		.amdhsa_reserve_flat_scratch 0
		.amdhsa_float_round_mode_32 0
		.amdhsa_float_round_mode_16_64 0
		.amdhsa_float_denorm_mode_32 3
		.amdhsa_float_denorm_mode_16_64 3
		.amdhsa_dx10_clamp 1
		.amdhsa_ieee_mode 1
		.amdhsa_fp16_overflow 0
		.amdhsa_tg_split 0
		.amdhsa_exception_fp_ieee_invalid_op 0
		.amdhsa_exception_fp_denorm_src 0
		.amdhsa_exception_fp_ieee_div_zero 0
		.amdhsa_exception_fp_ieee_overflow 0
		.amdhsa_exception_fp_ieee_underflow 0
		.amdhsa_exception_fp_ieee_inexact 0
		.amdhsa_exception_int_div_zero 0
	.end_amdhsa_kernel
	.section	.text._ZL18flash_attn_ext_vecILi128ELi1EL9ggml_type6ELS0_8ELb1EEvPKcS2_S2_S2_S2_PKiPfP15HIP_vector_typeIfLj2EEffffjfiS6_IjLj3EEiiiiiiiiiiiliiliiiiil,"axG",@progbits,_ZL18flash_attn_ext_vecILi128ELi1EL9ggml_type6ELS0_8ELb1EEvPKcS2_S2_S2_S2_PKiPfP15HIP_vector_typeIfLj2EEffffjfiS6_IjLj3EEiiiiiiiiiiiliiliiiiil,comdat
.Lfunc_end18:
	.size	_ZL18flash_attn_ext_vecILi128ELi1EL9ggml_type6ELS0_8ELb1EEvPKcS2_S2_S2_S2_PKiPfP15HIP_vector_typeIfLj2EEffffjfiS6_IjLj3EEiiiiiiiiiiiliiliiiiil, .Lfunc_end18-_ZL18flash_attn_ext_vecILi128ELi1EL9ggml_type6ELS0_8ELb1EEvPKcS2_S2_S2_S2_PKiPfP15HIP_vector_typeIfLj2EEffffjfiS6_IjLj3EEiiiiiiiiiiiliiliiiiil
                                        ; -- End function
	.section	.AMDGPU.csdata,"",@progbits
; Kernel info:
; codeLenInByte = 16204
; NumSgprs: 67
; NumVgprs: 224
; NumAgprs: 0
; TotalNumVgprs: 224
; ScratchSize: 0
; MemoryBound: 0
; FloatMode: 240
; IeeeMode: 1
; LDSByteSize: 1280 bytes/workgroup (compile time only)
; SGPRBlocks: 8
; VGPRBlocks: 27
; NumSGPRsForWavesPerEU: 67
; NumVGPRsForWavesPerEU: 224
; AccumOffset: 224
; Occupancy: 2
; WaveLimiterHint : 0
; COMPUTE_PGM_RSRC2:SCRATCH_EN: 0
; COMPUTE_PGM_RSRC2:USER_SGPR: 6
; COMPUTE_PGM_RSRC2:TRAP_HANDLER: 0
; COMPUTE_PGM_RSRC2:TGID_X_EN: 1
; COMPUTE_PGM_RSRC2:TGID_Y_EN: 1
; COMPUTE_PGM_RSRC2:TGID_Z_EN: 1
; COMPUTE_PGM_RSRC2:TIDIG_COMP_CNT: 1
; COMPUTE_PGM_RSRC3_GFX90A:ACCUM_OFFSET: 55
; COMPUTE_PGM_RSRC3_GFX90A:TG_SPLIT: 0
	.section	.text._ZL18flash_attn_ext_vecILi128ELi2EL9ggml_type6ELS0_8ELb0EEvPKcS2_S2_S2_S2_PKiPfP15HIP_vector_typeIfLj2EEffffjfiS6_IjLj3EEiiiiiiiiiiiliiliiiiil,"axG",@progbits,_ZL18flash_attn_ext_vecILi128ELi2EL9ggml_type6ELS0_8ELb0EEvPKcS2_S2_S2_S2_PKiPfP15HIP_vector_typeIfLj2EEffffjfiS6_IjLj3EEiiiiiiiiiiiliiliiiiil,comdat
	.globl	_ZL18flash_attn_ext_vecILi128ELi2EL9ggml_type6ELS0_8ELb0EEvPKcS2_S2_S2_S2_PKiPfP15HIP_vector_typeIfLj2EEffffjfiS6_IjLj3EEiiiiiiiiiiiliiliiiiil ; -- Begin function _ZL18flash_attn_ext_vecILi128ELi2EL9ggml_type6ELS0_8ELb0EEvPKcS2_S2_S2_S2_PKiPfP15HIP_vector_typeIfLj2EEffffjfiS6_IjLj3EEiiiiiiiiiiiliiliiiiil
	.p2align	8
	.type	_ZL18flash_attn_ext_vecILi128ELi2EL9ggml_type6ELS0_8ELb0EEvPKcS2_S2_S2_S2_PKiPfP15HIP_vector_typeIfLj2EEffffjfiS6_IjLj3EEiiiiiiiiiiiliiliiiiil,@function
_ZL18flash_attn_ext_vecILi128ELi2EL9ggml_type6ELS0_8ELb0EEvPKcS2_S2_S2_S2_PKiPfP15HIP_vector_typeIfLj2EEffffjfiS6_IjLj3EEiiiiiiiiiiiliiliiiiil: ; @_ZL18flash_attn_ext_vecILi128ELi2EL9ggml_type6ELS0_8ELb0EEvPKcS2_S2_S2_S2_PKiPfP15HIP_vector_typeIfLj2EEffffjfiS6_IjLj3EEiiiiiiiiiiiliiliiiiil
; %bb.0:
	s_load_dwordx2 s[34:35], s[6:7], 0x64
	s_load_dwordx2 s[44:45], s[6:7], 0x80
	;; [unrolled: 1-line block ×3, first 2 shown]
	v_mov_b32_e32 v214, 1.0
	s_waitcnt lgkmcnt(0)
	v_cvt_f32_u32_e32 v1, s35
	s_sub_i32 s0, 0, s35
	v_rcp_iflag_f32_e32 v1, v1
	v_mul_f32_e32 v1, 0x4f7ffffe, v1
	v_cvt_u32_f32_e32 v1, v1
	v_readfirstlane_b32 s1, v1
	s_mul_i32 s0, s0, s1
	s_mul_hi_u32 s0, s1, s0
	s_add_i32 s1, s1, s0
	s_mul_hi_u32 s0, s10, s1
	s_mul_i32 s1, s0, s35
	s_sub_i32 s1, s10, s1
	s_add_i32 s2, s0, 1
	s_sub_i32 s3, s1, s35
	s_cmp_ge_u32 s1, s35
	s_cselect_b32 s0, s2, s0
	s_cselect_b32 s1, s3, s1
	s_add_i32 s2, s0, 1
	s_cmp_ge_u32 s1, s35
	s_cselect_b32 s50, s2, s0
	s_abs_i32 s0, s45
	v_cvt_f32_u32_e32 v1, s0
	s_mul_i32 s3, s50, s35
	s_sub_i32 s11, 0, s0
	s_sub_i32 s36, s10, s3
	v_rcp_iflag_f32_e32 v1, v1
	s_abs_i32 s2, s35
	s_xor_b32 s1, s35, s45
	s_ashr_i32 s1, s1, 31
	v_mul_f32_e32 v1, 0x4f7ffffe, v1
	v_cvt_u32_f32_e32 v1, v1
	v_readfirstlane_b32 s3, v1
	s_mul_i32 s11, s11, s3
	s_mul_hi_u32 s10, s3, s11
	s_add_i32 s3, s3, s10
	s_mul_hi_u32 s3, s2, s3
	s_mul_i32 s10, s3, s0
	s_sub_i32 s2, s2, s10
	s_add_i32 s11, s3, 1
	s_sub_i32 s10, s2, s0
	s_cmp_ge_u32 s2, s0
	s_cselect_b32 s3, s11, s3
	s_cselect_b32 s2, s10, s2
	s_add_i32 s10, s3, 1
	s_cmp_ge_u32 s2, s0
	s_cselect_b32 s0, s10, s3
	s_xor_b32 s0, s0, s1
	s_sub_i32 s41, s0, s1
	s_abs_i32 s38, s38
	s_abs_i32 s40, s41
	v_cvt_f32_u32_e32 v1, s38
	v_cvt_f32_u32_e32 v2, s40
	s_load_dwordx4 s[12:15], s[6:7], 0x40
	s_load_dword s0, s[6:7], 0x50
	v_rcp_iflag_f32_e32 v1, v1
	v_rcp_iflag_f32_e32 v2, v2
	s_waitcnt lgkmcnt(0)
	v_cmp_le_f32_e64 s[2:3], s13, 0
	s_and_b64 vcc, exec, s[2:3]
	v_mul_f32_e32 v1, 0x4f7ffffe, v1
	v_mul_f32_e32 v2, 0x4f7ffffe, v2
	v_cvt_u32_f32_e32 v1, v1
	v_cvt_u32_f32_e32 v2, v2
	v_readfirstlane_b32 s42, v1
	v_readfirstlane_b32 s43, v2
	s_cbranch_vccnz .LBB19_2
; %bb.1:
	s_sub_i32 s1, s36, s0
	s_lshl_b32 s1, s1, 1
	s_add_i32 s2, s36, 1
	s_or_b32 s3, s1, 1
	s_cmp_lt_u32 s36, s0
	s_cselect_b64 vcc, -1, 0
	s_and_b64 s[0:1], vcc, exec
	v_mov_b32_e32 v1, s15
	v_mov_b32_e32 v2, s14
	s_cselect_b32 s0, s2, s3
	v_cndmask_b32_e32 v18, v1, v2, vcc
	v_cvt_f32_i32_e32 v1, s0
	v_cmp_neq_f32_e32 vcc, 1.0, v18
	s_mov_b32 s0, 0x3f2aaaab
	s_movk_i32 s2, 0x204
	v_cndmask_b32_e32 v19, 1.0, v1, vcc
	v_cmp_eq_f32_e32 vcc, 0, v19
	v_cndmask_b32_e64 v20, |v18|, 1.0, vcc
	v_frexp_mant_f32_e32 v1, v20
	v_cmp_gt_f32_e64 s[0:1], s0, v1
	v_cndmask_b32_e64 v2, 1.0, 2.0, s[0:1]
	v_mul_f32_e32 v1, v1, v2
	v_add_f32_e32 v2, 1.0, v1
	v_rcp_f32_e32 v10, v2
	v_add_f32_e32 v3, -1.0, v2
	v_sub_f32_e32 v5, v1, v3
	v_add_f32_e32 v3, -1.0, v1
	v_mul_f32_e32 v1, v3, v10
	v_mul_f32_e32 v4, v2, v1
	v_fma_f32 v6, v1, v2, -v4
	v_fmac_f32_e32 v6, v1, v5
	v_add_f32_e32 v2, v4, v6
	v_sub_f32_e32 v5, v3, v2
	v_pk_add_f32 v[8:9], v[2:3], v[4:5] neg_lo:[0,1] neg_hi:[0,1]
	v_mov_b32_e32 v7, v2
	v_pk_add_f32 v[2:3], v[8:9], v[6:7] neg_lo:[0,1] neg_hi:[0,1]
	v_add_f32_e32 v2, v2, v3
	v_add_f32_e32 v2, v5, v2
	v_mul_f32_e32 v3, v10, v2
	v_add_f32_e32 v2, v1, v3
	v_sub_f32_e32 v1, v2, v1
	v_sub_f32_e32 v1, v3, v1
	v_mul_f32_e32 v3, v2, v2
	v_fma_f32 v5, v2, v2, -v3
	v_add_f32_e32 v4, v1, v1
	v_fmac_f32_e32 v5, v2, v4
	v_add_f32_e32 v4, v3, v5
	v_mov_b32_e32 v6, 0x3e91f4c4
	v_fmac_f32_e32 v6, 0x3e76c4e1, v4
	v_mov_b32_e32 v7, 0x3ecccdef
	v_fmac_f32_e32 v7, v4, v6
	v_sub_f32_e32 v3, v4, v3
	v_sub_f32_e32 v12, v5, v3
	v_mul_f32_e32 v3, v4, v7
	v_fma_f32 v5, v4, v7, -v3
	v_fmac_f32_e32 v5, v12, v7
	v_add_f32_e32 v6, v3, v5
	v_add_f32_e32 v7, 0x3f2aaaaa, v6
	v_sub_f32_e32 v3, v6, v3
	v_sub_f32_e32 v3, v5, v3
	v_add_f32_e32 v5, 0xbf2aaaaa, v7
	v_add_f32_e32 v3, 0x31739010, v3
	v_sub_f32_e32 v5, v6, v5
	v_pk_mul_f32 v[8:9], v[2:3], v[4:5]
	v_fma_f32 v6, v4, v2, -v8
	v_pk_add_f32 v[10:11], v[2:3], v[4:5]
	v_fmac_f32_e32 v6, v4, v1
	v_mov_b32_e32 v9, v11
	v_fmac_f32_e32 v6, v12, v2
	v_pk_add_f32 v[4:5], v[8:9], v[6:7]
	v_sub_f32_e32 v3, v4, v8
	v_sub_f32_e32 v3, v6, v3
	;; [unrolled: 1-line block ×3, first 2 shown]
	v_add_f32_e32 v9, v11, v6
	v_mov_b32_e32 v6, v5
	v_pk_mul_f32 v[6:7], v[4:5], v[6:7]
	v_cvt_f64_f32_e32 v[10:11], v20
	v_frexp_exp_i32_f64_e32 v7, v[10:11]
	v_subbrev_co_u32_e64 v7, s[0:1], 0, v7, s[0:1]
	v_cvt_f32_i32_e32 v7, v7
	v_fma_f32 v8, v4, v5, -v6
	v_fmac_f32_e32 v8, v4, v9
	s_mov_b32 s0, 0x3f317218
	v_mul_f32_e32 v4, 0x3f317218, v7
	v_fmac_f32_e32 v8, v3, v5
	v_fma_f32 v10, v7, s0, -v4
	v_fmac_f32_e32 v10, 0xb102e308, v7
	v_ldexp_f32 v11, v2, 1
	v_add_f32_e32 v5, v6, v8
	v_pk_add_f32 v[2:3], v[4:5], v[10:11]
	v_mov_b32_e32 v12, v5
	v_mov_b32_e32 v13, v3
	;; [unrolled: 1-line block ×3, first 2 shown]
	v_pk_add_f32 v[6:7], v[12:13], v[6:7] neg_lo:[0,1] neg_hi:[0,1]
	v_mov_b32_e32 v9, v5
	v_ldexp_f32 v1, v1, 1
	v_pk_add_f32 v[6:7], v[8:9], v[6:7] neg_lo:[0,1] neg_hi:[0,1]
	v_add_f32_e32 v1, v1, v6
	v_add_f32_e32 v5, v1, v7
	v_pk_add_f32 v[6:7], v[2:3], v[4:5] neg_lo:[0,1] neg_hi:[0,1]
	v_pk_add_f32 v[8:9], v[2:3], v[4:5]
	v_mov_b32_e32 v12, v6
	v_mov_b32_e32 v13, v9
	;; [unrolled: 1-line block ×3, first 2 shown]
	v_pk_add_f32 v[12:13], v[10:11], v[12:13]
	v_mov_b32_e32 v4, v13
	v_pk_add_f32 v[14:15], v[4:5], v[2:3] neg_lo:[0,1] neg_hi:[0,1]
	v_mov_b32_e32 v1, v14
	v_mov_b32_e32 v12, v9
	;; [unrolled: 1-line block ×4, first 2 shown]
	v_pk_add_f32 v[6:7], v[10:11], v[6:7] neg_lo:[0,1] neg_hi:[0,1]
	v_pk_add_f32 v[16:17], v[8:9], v[0:1] neg_lo:[0,1] neg_hi:[0,1]
	v_pk_add_f32 v[2:3], v[12:13], v[2:3] neg_lo:[0,1] neg_hi:[0,1]
	v_mov_b32_e32 v10, v5
	v_pk_add_f32 v[2:3], v[10:11], v[2:3] neg_lo:[0,1] neg_hi:[0,1]
	v_mov_b32_e32 v16, v6
	v_pk_add_f32 v[8:9], v[16:17], v[2:3]
	v_mov_b32_e32 v10, v9
	v_pk_add_f32 v[10:11], v[8:9], v[10:11]
	v_pk_add_f32 v[4:5], v[4:5], v[10:11]
	v_mov_b32_e32 v7, v13
	v_mov_b32_e32 v9, v4
	v_pk_add_f32 v[12:13], v[8:9], v[6:7] neg_lo:[0,1] neg_hi:[0,1]
	v_mov_b32_e32 v3, v10
	v_sub_f32_e32 v1, v8, v12
	v_pk_add_f32 v[2:3], v[2:3], v[12:13] neg_lo:[0,1] neg_hi:[0,1]
	v_sub_f32_e32 v1, v6, v1
	v_add_f32_e32 v1, v2, v1
	v_add_f32_e32 v1, v1, v3
	;; [unrolled: 1-line block ×3, first 2 shown]
	v_sub_f32_e32 v3, v2, v4
	v_sub_f32_e32 v1, v1, v3
	v_mul_f32_e32 v3, v19, v2
	v_fma_f32 v2, v19, v2, -v3
	v_fmac_f32_e32 v2, v19, v1
	v_add_f32_e32 v1, v3, v2
	v_cmp_class_f32_e64 s[0:1], v3, s2
	v_sub_f32_e32 v4, v1, v3
	v_cndmask_b32_e64 v1, v1, v3, s[0:1]
	s_mov_b32 s10, 0x42b17218
	v_mov_b32_e32 v3, 0x37000000
	v_cmp_eq_f32_e64 s[0:1], s10, v1
	v_cndmask_b32_e64 v3, 0, v3, s[0:1]
	v_sub_f32_e32 v2, v2, v4
	v_sub_f32_e32 v4, v1, v3
	s_mov_b32 s0, 0x3fb8aa3b
	v_mul_f32_e32 v5, 0x3fb8aa3b, v4
	v_fma_f32 v6, v4, s0, -v5
	v_rndne_f32_e32 v7, v5
	v_fmac_f32_e32 v6, 0x32a5705f, v4
	v_sub_f32_e32 v5, v5, v7
	v_add_f32_e32 v5, v5, v6
	v_exp_f32_e32 v5, v5
	v_cvt_i32_f32_e32 v6, v7
	s_mov_b32 s3, 0x7f800000
	v_cmp_neq_f32_e64 s[0:1], |v1|, s3
	v_cndmask_b32_e64 v1, 0, v2, s[0:1]
	s_mov_b32 s0, 0xc2ce8ed0
	v_ldexp_f32 v2, v5, v6
	v_cmp_ngt_f32_e64 s[0:1], s0, v4
	v_add_f32_e32 v1, v3, v1
	v_cndmask_b32_e64 v2, 0, v2, s[0:1]
	v_mov_b32_e32 v3, 0x7f800000
	v_cmp_nlt_f32_e64 s[0:1], s10, v4
	v_cndmask_b32_e64 v2, v3, v2, s[0:1]
	v_fma_f32 v1, v2, v1, v2
	v_cmp_class_f32_e64 s[0:1], v2, s2
	v_trunc_f32_e32 v4, v19
	v_cndmask_b32_e64 v1, v1, v2, s[0:1]
	v_cndmask_b32_e64 v2, v18, 1.0, vcc
	v_cmp_eq_f32_e32 vcc, v4, v19
	v_mul_f32_e32 v4, 0.5, v19
	v_trunc_f32_e32 v6, v4
	v_cmp_neq_f32_e64 s[0:1], v6, v4
	s_and_b64 s[0:1], vcc, s[0:1]
	v_cndmask_b32_e64 v4, 1.0, v2, s[0:1]
	s_brev_b32 s14, -2
	v_mov_b32_e32 v5, 0x7fc00000
	v_bfi_b32 v1, s14, v1, v4
	v_cndmask_b32_e32 v4, v5, v1, vcc
	v_cmp_gt_f32_e32 vcc, 0, v2
	v_cndmask_b32_e32 v1, v1, v4, vcc
	v_cmp_eq_f32_e32 vcc, s3, v20
	v_cmp_eq_f32_e64 s[2:3], 0, v2
	v_cmp_gt_f32_e64 s[10:11], 0, v19
	s_xor_b64 s[10:11], s[10:11], s[2:3]
	v_cndmask_b32_e64 v3, v3, 0, s[10:11]
	v_cndmask_b32_e64 v4, 0, v2, s[0:1]
	v_bfi_b32 v3, s14, v3, v4
	s_or_b64 vcc, vcc, s[2:3]
	v_cndmask_b32_e32 v1, v1, v3, vcc
	v_cmp_o_f32_e32 vcc, v2, v2
	v_cndmask_b32_e32 v214, v5, v1, vcc
.LBB19_2:
	s_load_dwordx2 s[0:1], s[4:5], 0x4
	s_load_dwordx16 s[16:31], s[6:7], 0x0
	v_bfe_u32 v208, v0, 10, 10
	v_and_b32_e32 v203, 0x3ff, v0
	v_bfe_u32 v0, v0, 20, 10
	s_waitcnt lgkmcnt(0)
	s_lshr_b32 s0, s0, 16
	v_mul_u32_u24_e32 v1, s1, v208
	s_mul_i32 s0, s0, s1
	v_mad_u32_u24 v1, s0, v203, v1
	v_add_lshl_u32 v16, v1, v0, 4
	v_mov_b32_e32 v12, 0
	v_add_u32_e32 v0, 0x604, v16
	s_lshl_b32 s33, s8, 1
	ds_write2_b32 v0, v12, v12 offset1:1
	v_add_u32_e32 v0, 0x400, v16
	v_cmp_lt_u32_e64 s[0:1], 1, v208
	v_cmp_gt_u32_e32 vcc, 2, v208
	v_lshlrev_b32_e32 v209, 8, v208
	ds_write2_b32 v0, v12, v12 offset0:128 offset1:131
	s_and_saveexec_b64 s[2:3], vcc
	s_cbranch_execz .LBB19_13
; %bb.3:
	v_or_b32_e32 v0, s33, v208
	v_cmp_le_i32_e32 vcc, s34, v0
	v_lshl_add_u32 v3, v203, 2, v209
	s_and_saveexec_b64 s[4:5], vcc
	s_xor_b64 s[4:5], exec, s[4:5]
	s_cbranch_execz .LBB19_7
; %bb.4:
	v_mov_b32_e32 v0, 0
	v_cmp_gt_u32_e32 vcc, 4, v203
	ds_write_b32 v3, v0
	s_and_saveexec_b64 s[10:11], vcc
	s_cbranch_execz .LBB19_6
; %bb.5:
	v_lshl_add_u32 v2, v203, 2, v3
	v_mov_b32_e32 v1, v0
	ds_write_b64 v2, v[0:1] offset:128
.LBB19_6:
	s_or_b64 exec, exec, s[10:11]
                                        ; implicit-def: $vgpr3
.LBB19_7:
	s_andn2_saveexec_b64 s[4:5], s[4:5]
	s_cbranch_execz .LBB19_13
; %bb.8:
	s_load_dwordx4 s[52:55], s[6:7], 0x70
	s_waitcnt lgkmcnt(0)
	s_mul_i32 s4, s50, s54
	s_mul_i32 s10, s33, s52
	;; [unrolled: 1-line block ×3, first 2 shown]
	s_add_i32 s4, s4, s10
	s_add_i32 s4, s4, s5
	s_ashr_i32 s5, s4, 31
	s_add_u32 s4, s16, s4
	v_mul_lo_u32 v0, v208, s52
	s_addc_u32 s5, s17, s5
	v_ashrrev_i32_e32 v1, 31, v0
	v_mov_b32_e32 v2, s5
	v_add_co_u32_e32 v0, vcc, s4, v0
	v_addc_co_u32_e32 v1, vcc, v2, v1, vcc
	v_lshlrev_b32_e32 v2, 4, v203
	v_add_co_u32_e32 v0, vcc, v0, v2
	v_addc_co_u32_e32 v1, vcc, 0, v1, vcc
	global_load_dwordx4 v[8:11], v[0:1], off
	v_mbcnt_lo_u32_b32 v0, -1, 0
	v_mbcnt_hi_u32_b32 v2, -1, v0
	v_and_b32_e32 v0, 0x60, v2
	v_xor_b32_e32 v1, 4, v2
	v_add_u32_e32 v13, 32, v0
	v_xor_b32_e32 v4, 2, v2
	v_cmp_lt_i32_e32 vcc, v1, v13
	v_cndmask_b32_e32 v0, v2, v1, vcc
	v_cmp_lt_i32_e32 vcc, v4, v13
	v_cndmask_b32_e32 v1, v2, v4, vcc
	v_lshlrev_b32_e32 v4, 2, v0
	v_lshlrev_b32_e32 v14, 2, v1
	v_xor_b32_e32 v5, 1, v2
	v_cmp_lt_i32_e32 vcc, v5, v13
	v_cndmask_b32_e32 v2, v2, v5, vcc
	v_lshlrev_b32_e32 v2, 2, v2
	s_mov_b32 s10, 0x42fe0000
	s_waitcnt vmcnt(0)
	v_mul_f32_e32 v7, s12, v8
	v_mov_b32_e32 v8, v11
	v_pk_mul_f32 v[0:1], v[8:9], s[12:13] op_sel_hi:[1,0]
	v_max_f32_e64 v8, |v7|, |v7|
	v_mul_f32_e32 v6, s12, v10
	v_max_f32_e64 v8, v8, |v1|
	v_max3_f32 v8, v8, |v6|, |v0|
	ds_bpermute_b32 v9, v4, v8
	v_add_f32_e32 v11, v1, v7
	v_fmac_f32_e32 v11, s12, v10
	v_add_f32_e32 v10, v0, v11
	ds_bpermute_b32 v4, v4, v10
	s_waitcnt lgkmcnt(1)
	v_max_f32_e32 v9, v9, v9
	v_max_f32_e32 v8, v8, v9
	ds_bpermute_b32 v9, v14, v8
	s_waitcnt lgkmcnt(1)
	v_add_f32_e32 v4, v10, v4
	ds_bpermute_b32 v5, v14, v4
	s_waitcnt lgkmcnt(1)
	v_max_f32_e32 v9, v9, v9
	v_max_f32_e32 v9, v8, v9
	ds_bpermute_b32 v10, v2, v9
	s_waitcnt lgkmcnt(1)
	v_add_f32_e32 v4, v4, v5
	v_mov_b32_e32 v8, 0
	s_waitcnt lgkmcnt(0)
	v_max_f32_e32 v5, v10, v10
	v_max_f32_e32 v9, v9, v5
	v_div_scale_f32 v10, s[4:5], s10, s10, v9
	v_rcp_f32_e32 v11, v10
	ds_bpermute_b32 v5, v2, v4
	v_div_scale_f32 v2, vcc, v9, s10, v9
	v_fma_f32 v13, -v10, v11, 1.0
	v_fmac_f32_e32 v11, v13, v11
	v_mul_f32_e32 v13, v2, v11
	v_fma_f32 v14, -v10, v13, v2
	v_fmac_f32_e32 v13, v14, v11
	v_fma_f32 v2, -v10, v13, v2
	v_div_fmas_f32 v2, v2, v11, v13
	v_div_fixup_f32 v2, v2, s10, v9
	v_cmp_neq_f32_e32 vcc, 0, v2
	s_and_saveexec_b64 s[4:5], vcc
	s_cbranch_execz .LBB19_10
; %bb.9:
	v_div_scale_f32 v8, s[10:11], v2, v2, v7
	v_rcp_f32_e32 v9, v8
	v_div_scale_f32 v10, vcc, v7, v2, v7
	s_brev_b32 s12, -2
	v_fma_f32 v11, -v8, v9, 1.0
	v_fmac_f32_e32 v9, v11, v9
	v_mul_f32_e32 v11, v10, v9
	v_fma_f32 v13, -v8, v11, v10
	v_fmac_f32_e32 v11, v13, v9
	v_fma_f32 v8, -v8, v11, v10
	v_div_fmas_f32 v8, v8, v9, v11
	v_div_fixup_f32 v7, v8, v2, v7
	v_trunc_f32_e32 v8, v7
	v_sub_f32_e32 v9, v7, v8
	v_cmp_ge_f32_e64 s[10:11], |v9|, 0.5
	v_cndmask_b32_e64 v9, 0, 1.0, s[10:11]
	v_div_scale_f32 v10, s[10:11], v2, v2, v0
	v_rcp_f32_e32 v11, v10
	v_bfi_b32 v7, s12, v9, v7
	v_add_f32_e32 v7, v8, v7
	v_cvt_i32_f32_e32 v7, v7
	v_fma_f32 v8, -v10, v11, 1.0
	v_fmac_f32_e32 v11, v8, v11
	v_div_scale_f32 v8, vcc, v0, v2, v0
	v_mul_f32_e32 v9, v8, v11
	v_fma_f32 v13, -v10, v9, v8
	v_fmac_f32_e32 v9, v13, v11
	v_div_scale_f32 v13, s[10:11], v2, v2, v1
	v_rcp_f32_e32 v14, v13
	v_fma_f32 v8, -v10, v9, v8
	v_div_fmas_f32 v8, v8, v11, v9
	v_div_fixup_f32 v0, v8, v2, v0
	v_fma_f32 v9, -v13, v14, 1.0
	v_fmac_f32_e32 v14, v9, v14
	v_div_scale_f32 v9, vcc, v1, v2, v1
	v_mul_f32_e32 v10, v9, v14
	v_fma_f32 v11, -v13, v10, v9
	v_fmac_f32_e32 v10, v11, v14
	v_div_scale_f32 v11, s[10:11], v2, v2, v6
	v_rcp_f32_e32 v15, v11
	v_fma_f32 v9, -v13, v10, v9
	v_div_fmas_f32 v9, v9, v14, v10
	v_div_fixup_f32 v1, v9, v2, v1
	v_fma_f32 v10, -v11, v15, 1.0
	v_fmac_f32_e32 v15, v10, v15
	v_div_scale_f32 v10, vcc, v6, v2, v6
	v_mul_f32_e32 v13, v10, v15
	v_fma_f32 v14, -v11, v13, v10
	v_fmac_f32_e32 v13, v14, v15
	v_fma_f32 v10, -v11, v13, v10
	v_div_fmas_f32 v10, v10, v15, v13
	v_div_fixup_f32 v6, v10, v2, v6
	v_trunc_f32_e32 v10, v6
	v_sub_f32_e32 v11, v6, v10
	v_trunc_f32_e32 v8, v1
	v_cmp_ge_f32_e64 s[10:11], |v11|, 0.5
	v_sub_f32_e32 v9, v1, v8
	v_cndmask_b32_e64 v11, 0, 1.0, s[10:11]
	v_cmp_ge_f32_e64 s[10:11], |v9|, 0.5
	v_cndmask_b32_e64 v9, 0, 1.0, s[10:11]
	v_bfi_b32 v1, s12, v9, v1
	v_add_f32_e32 v1, v8, v1
	v_trunc_f32_e32 v8, v0
	v_sub_f32_e32 v9, v0, v8
	v_bfi_b32 v6, s12, v11, v6
	v_cmp_ge_f32_e64 s[10:11], |v9|, 0.5
	v_add_f32_e32 v6, v10, v6
	v_cndmask_b32_e64 v9, 0, 1.0, s[10:11]
	v_cvt_i32_f32_e32 v6, v6
	v_bfi_b32 v0, s12, v9, v0
	v_add_f32_e32 v0, v8, v0
	v_cvt_i32_f32_e32 v1, v1
	v_cvt_i32_f32_e32 v0, v0
	v_and_b32_e32 v6, 0xff, v6
	v_lshlrev_b32_e32 v6, 16, v6
	v_mov_b32_e32 v8, 8
	v_lshlrev_b32_sdwa v1, v8, v1 dst_sel:DWORD dst_unused:UNUSED_PAD src0_sel:DWORD src1_sel:BYTE_0
	v_lshl_or_b32 v0, v0, 24, v6
	v_and_b32_e32 v6, 0xff, v7
	v_or3_b32 v8, v0, v1, v6
.LBB19_10:
	s_or_b64 exec, exec, s[4:5]
	v_and_b32_e32 v0, 7, v203
	v_cmp_eq_u32_e32 vcc, 0, v0
	ds_write_b32 v3, v8
	s_and_saveexec_b64 s[4:5], vcc
	s_cbranch_execz .LBB19_12
; %bb.11:
	s_waitcnt lgkmcnt(1)
	v_add_f32_e32 v3, v4, v5
	v_add_u32_e32 v0, v209, v203
	ds_write_b64 v0, v[2:3] offset:128
.LBB19_12:
	s_or_b64 exec, exec, s[4:5]
.LBB19_13:
	s_or_b64 exec, exec, s[2:3]
	v_and_b32_e32 v20, 3, v203
	v_lshlrev_b32_e32 v32, 2, v20
	s_waitcnt lgkmcnt(0)
	s_barrier
	ds_read2_b32 v[34:35], v32 offset1:4
	ds_read2_b32 v[36:37], v32 offset0:8 offset1:12
	ds_read_b128 v[0:3], v12 offset:128
	ds_read_b128 v[4:7], v12 offset:144
	ds_read2_b32 v[38:39], v32 offset0:16 offset1:20
	ds_read2_b32 v[40:41], v32 offset0:24 offset1:28
	;; [unrolled: 1-line block ×5, first 2 shown]
	ds_read_b128 v[8:11], v12 offset:384
	ds_read_b128 v[12:15], v12 offset:400
	ds_read2_b32 v[48:49], v32 offset0:88 offset1:92
	s_cmp_eq_u64 s[26:27], 0
	s_mov_b32 s37, s44
	s_waitcnt lgkmcnt(0)
	s_barrier
	s_cbranch_scc1 .LBB19_15
; %bb.14:
	s_load_dword s2, s[6:7], 0xd0
	s_mov_b32 s3, 0
	s_waitcnt lgkmcnt(0)
	s_mul_i32 s2, s2, s50
	s_add_i32 s2, s2, s8
	s_lshl_b64 s[2:3], s[2:3], 2
	s_add_u32 s2, s26, s2
	s_addc_u32 s3, s27, s3
	s_load_dword s37, s[2:3], 0x0
.LBB19_15:
	v_add_u32_e32 v212, 0x600, v16
	v_lshlrev_b32_e32 v16, 5, v208
	s_mov_b32 s2, 0xfeffffff
	v_add_u32_e32 v210, v16, v203
	s_lshl_b32 s26, s9, 7
	s_mov_b32 s3, s2
	v_mov_b32_e32 v55, 0
	s_mov_b32 s8, 0
	s_waitcnt lgkmcnt(0)
	s_cmp_ge_i32 s26, s37
	v_pk_mov_b32 v[56:57], s[2:3], s[2:3] op_sel:[0,1]
	v_mbcnt_lo_u32_b32 v215, -1, 0
	v_lshlrev_b32_e32 v213, 2, v203
	v_lshlrev_b32_e32 v211, 1, v210
	v_mov_b32_e32 v54, v55
	s_cbranch_scc1 .LBB19_34
; %bb.16:
	s_sub_i32 s2, 0, s40
	s_load_dwordx2 s[46:47], s[6:7], 0x8c
	s_load_dwordx4 s[12:15], s[6:7], 0x98
	s_sub_i32 s3, 0, s38
	s_mul_i32 s2, s2, s43
	s_mul_i32 s3, s3, s42
	s_mul_hi_u32 s2, s43, s2
	s_mul_hi_u32 s3, s42, s3
	s_abs_i32 s4, s36
	s_add_i32 s43, s43, s2
	s_add_i32 s42, s42, s3
	s_mul_hi_u32 s3, s4, s43
	s_ashr_i32 s10, s36, 31
	s_ashr_i32 s11, s41, 31
	;; [unrolled: 1-line block ×3, first 2 shown]
	s_waitcnt lgkmcnt(0)
	s_mul_i32 s58, s50, s13
	s_mul_i32 s13, s63, s12
	s_xor_b32 s10, s10, s11
	s_mul_i32 s11, s3, s40
	s_mul_hi_u32 s16, s50, s12
	s_add_i32 s58, s58, s13
	s_sub_i32 s4, s4, s11
	s_abs_i32 s2, s50
	s_add_i32 s52, s58, s16
	s_add_i32 s11, s3, 1
	s_sub_i32 s13, s4, s40
	s_cmp_ge_u32 s4, s40
	s_cselect_b32 s3, s11, s3
	s_cselect_b32 s4, s13, s4
	s_add_i32 s11, s3, 1
	s_cmp_ge_u32 s4, s40
	s_cselect_b32 s3, s11, s3
	s_mul_hi_u32 s5, s2, s42
	s_xor_b32 s3, s3, s10
	s_sub_i32 s56, s3, s10
	s_mul_i32 s5, s5, s38
	s_mul_i32 s54, s56, s47
	;; [unrolled: 1-line block ×3, first 2 shown]
	s_sub_i32 s2, s2, s5
	s_ashr_i32 s55, s54, 31
	s_ashr_i32 s57, s56, 31
	s_sub_i32 s3, s2, s38
	s_cmp_ge_u32 s2, s38
	s_cselect_b32 s2, s3, s2
	s_sub_i32 s3, s2, s38
	s_cmp_ge_u32 s2, s38
	s_cselect_b32 s4, s3, s2
	s_load_dwordx2 s[48:49], s[6:7], 0xa8
	s_load_dwordx2 s[2:3], s[6:7], 0xc8
	s_xor_b32 s4, s4, s63
	s_sub_i32 s4, s4, s63
	s_load_dword s10, s[6:7], 0xd4
	s_ashr_i32 s5, s4, 31
	s_waitcnt lgkmcnt(0)
	s_mul_i32 s3, s4, s3
	s_mul_hi_u32 s11, s4, s2
	s_add_i32 s3, s11, s3
	s_mul_i32 s5, s5, s2
	s_mul_i32 s47, s33, s39
	s_add_i32 s13, s3, s5
	s_ashr_i32 s51, s47, 31
	s_cmp_lg_u64 s[22:23], 0
	s_mul_i32 s15, s4, s2
	s_cselect_b64 s[4:5], -1, 0
	s_lshl_b32 s38, s10, 7
	s_cmp_lt_i32 s33, s34
	v_mbcnt_hi_u32_b32 v22, -1, v215
	s_cselect_b64 s[10:11], -1, 0
	v_and_b32_e32 v18, 0x7c, v22
	s_and_b64 s[40:41], s[4:5], s[10:11]
	s_or_b32 s10, s33, 1
	v_add_u32_e32 v19, 4, v18
	v_xor_b32_e32 v18, 2, v22
	s_cmp_lt_i32 s10, s34
	v_cmp_lt_i32_e32 vcc, v18, v19
	v_xor_b32_e32 v21, 1, v22
	s_cselect_b64 s[10:11], -1, 0
	v_cndmask_b32_e32 v18, v22, v18, vcc
	v_cmp_lt_i32_e32 vcc, v21, v19
	s_and_b64 s[42:43], s[4:5], s[10:11]
	s_ashr_i32 s45, s44, 31
	v_cndmask_b32_e32 v19, v22, v21, vcc
	v_and_b32_e32 v21, 0x60, v22
	s_add_u32 s59, s18, s54
	s_mul_i32 s53, s50, s12
	v_add_u32_e32 v23, 32, v21
	v_cmp_eq_u32_e64 s[2:3], 0, v20
	v_cmp_eq_u32_e64 s[4:5], 1, v20
	;; [unrolled: 1-line block ×4, first 2 shown]
	v_xor_b32_e32 v20, 4, v22
	s_addc_u32 s60, s19, s55
	s_mov_b32 s27, s8
	v_cmp_lt_i32_e32 vcc, v20, v23
	v_xor_b32_e32 v21, 8, v22
	s_add_u32 s61, s59, s53
	v_and_b32_e32 v17, 0x7c, v203
	v_cndmask_b32_e32 v20, v22, v20, vcc
	v_cmp_lt_i32_e32 vcc, v21, v23
	v_xor_b32_e32 v26, 16, v22
	s_addc_u32 s62, s60, s52
	s_lshl_b64 s[64:65], s[26:27], 1
	v_add_u32_e32 v17, v16, v17
	v_cndmask_b32_e32 v21, v22, v21, vcc
	v_cmp_lt_i32_e32 vcc, v26, v23
	s_add_u32 s27, s22, s64
	v_add_u32_e32 v24, s44, v17
	v_cndmask_b32_e32 v22, v22, v26, vcc
	v_add_co_u32_e32 v26, vcc, s44, v17
	s_addc_u32 s44, s23, s65
	v_ashrrev_i32_e32 v25, 31, v24
	v_mov_b32_e32 v23, s45
	s_add_u32 s27, s27, s15
	s_mov_b32 s39, s8
	v_addc_co_u32_e32 v27, vcc, 0, v23, vcc
	v_lshlrev_b64 v[24:25], 1, v[24:25]
	s_addc_u32 s66, s44, s13
	v_mov_b32_e32 v23, s66
	v_add_co_u32_e32 v50, vcc, s27, v24
	s_lshl_b64 s[44:45], s[38:39], 1
	v_addc_co_u32_e32 v51, vcc, v23, v25, vcc
	s_add_u32 s15, s15, s64
	v_lshlrev_b64 v[24:25], 1, v[26:27]
	v_bfe_u32 v28, v203, 3, 27
	s_addc_u32 s39, s13, s65
	v_add_co_u32_e32 v52, vcc, s27, v24
	s_add_u32 s13, s22, s15
	v_addc_co_u32_e32 v53, vcc, v23, v25, vcc
	v_mul_hi_u32_u24_e32 v25, 34, v28
	v_mul_u32_u24_e32 v24, 34, v28
	s_mul_i32 s22, s50, s49
	s_mul_i32 s63, s63, s48
	v_mov_b32_e32 v23, s48
	v_mul_lo_u32 v31, v16, s14
	s_addc_u32 s15, s23, s39
	s_add_i32 s27, s22, s63
	v_mad_u64_u32 v[28:29], s[22:23], s50, v23, v[24:25]
	v_ashrrev_i32_e32 v33, 31, v31
	v_add_u32_e32 v27, s27, v29
	v_add_co_u32_e32 v23, vcc, v28, v31
	v_and_b32_e32 v30, 28, v213
	v_addc_co_u32_e32 v24, vcc, v27, v33, vcc
	v_add_co_u32_e32 v29, vcc, v28, v30
	v_addc_co_u32_e32 v30, vcc, 0, v27, vcc
	v_add_co_u32_e32 v25, vcc, v29, v31
	v_addc_co_u32_e32 v26, vcc, v30, v33, vcc
	v_add_u32_e32 v54, s14, v31
	v_mov_b32_e32 v31, s57
	v_add_co_u32_e32 v33, vcc, s56, v28
	v_addc_co_u32_e32 v58, vcc, v27, v31, vcc
	v_ashrrev_i32_e32 v55, 31, v54
	v_add_co_u32_e32 v27, vcc, v33, v54
	v_addc_co_u32_e32 v28, vcc, v58, v55, vcc
	v_add_co_u32_e32 v59, vcc, s56, v29
	v_addc_co_u32_e32 v60, vcc, v30, v31, vcc
	v_add_co_u32_e32 v29, vcc, v59, v54
	v_add_u32_e32 v56, s14, v54
	v_addc_co_u32_e32 v30, vcc, v60, v55, vcc
	v_ashrrev_i32_e32 v57, 31, v56
	v_add_co_u32_e32 v31, vcc, v33, v56
	v_addc_co_u32_e32 v54, vcc, v58, v57, vcc
	v_add_co_u32_e32 v55, vcc, v59, v56
	v_add_u32_e32 v61, s14, v56
	v_addc_co_u32_e32 v56, vcc, v60, v57, vcc
	v_ashrrev_i32_e32 v62, 31, v61
	;; [unrolled: 6-line block ×8, first 2 shown]
	v_add_co_u32_e32 v110, vcc, v33, v63
	v_addc_co_u32_e32 v111, vcc, v58, v61, vcc
	v_add_co_u32_e32 v112, vcc, v59, v63
	v_addc_co_u32_e32 v113, vcc, v60, v61, vcc
	v_add_u32_e32 v61, 31, v16
	v_mul_lo_u32 v61, s14, v61
	v_add_u32_e32 v62, s14, v63
	v_ashrrev_i32_e32 v63, 31, v61
	v_add_co_u32_e32 v114, vcc, v59, v61
	v_addc_co_u32_e32 v115, vcc, v60, v63, vcc
	v_add_co_u32_e32 v116, vcc, v33, v61
	v_add_u32_e32 v61, 30, v16
	v_addc_co_u32_e32 v117, vcc, v58, v63, vcc
	v_mul_lo_u32 v61, s14, v61
	v_ashrrev_i32_e32 v63, 31, v61
	v_add_co_u32_e32 v118, vcc, v59, v61
	v_addc_co_u32_e32 v119, vcc, v60, v63, vcc
	v_add_co_u32_e32 v120, vcc, v33, v61
	v_add_u32_e32 v61, 29, v16
	v_addc_co_u32_e32 v121, vcc, v58, v63, vcc
	v_mul_lo_u32 v61, s14, v61
	;; [unrolled: 7-line block ×12, first 2 shown]
	v_ashrrev_i32_e32 v63, 31, v61
	v_add_co_u32_e32 v162, vcc, v59, v61
	v_addc_co_u32_e32 v163, vcc, v60, v63, vcc
	v_add_co_u32_e32 v164, vcc, v33, v61
	v_add_u32_e32 v61, s14, v62
	v_addc_co_u32_e32 v165, vcc, v58, v63, vcc
	v_add_u32_e32 v63, s14, v61
	v_add_u32_e32 v64, s14, v63
	;; [unrolled: 1-line block ×7, first 2 shown]
	v_ashrrev_i32_e32 v70, 31, v69
	v_add_co_u32_e32 v166, vcc, v59, v69
	v_addc_co_u32_e32 v167, vcc, v60, v70, vcc
	v_add_co_u32_e32 v168, vcc, v33, v69
	v_addc_co_u32_e32 v169, vcc, v58, v70, vcc
	v_ashrrev_i32_e32 v69, 31, v68
	v_add_co_u32_e32 v170, vcc, v59, v68
	v_addc_co_u32_e32 v171, vcc, v60, v69, vcc
	v_add_co_u32_e32 v172, vcc, v33, v68
	v_addc_co_u32_e32 v173, vcc, v58, v69, vcc
	;; [unrolled: 5-line block ×8, first 2 shown]
	v_ashrrev_i32_e32 v67, 31, v62
	v_add_co_u32_e32 v198, vcc, v59, v62
	v_addc_co_u32_e32 v199, vcc, v60, v67, vcc
	v_mul_lo_u32 v108, v17, s46
	v_add_co_u32_e32 v200, vcc, v33, v62
	v_add_u32_e32 v84, s46, v108
	v_addc_co_u32_e32 v201, vcc, v58, v67, vcc
	v_mov_b32_e32 v33, 0
	v_add_u32_e32 v68, s46, v84
	v_mov_b32_e32 v58, s12
	v_add_u32_e32 v60, s46, v68
	v_mad_u64_u32 v[82:83], s[22:23], s50, v58, v[32:33]
	v_add_u32_e32 v83, s58, v83
	v_lshlrev_b32_e32 v216, 2, v18
	v_lshlrev_b32_e32 v221, 1, v16
	v_ashrrev_i32_e32 v16, 31, v60
	v_add_co_u32_e32 v18, vcc, v82, v60
	v_lshlrev_b32_e32 v217, 2, v19
	v_addc_co_u32_e32 v19, vcc, v83, v16, vcc
	v_lshlrev_b32_e32 v218, 2, v20
	v_mov_b32_e32 v20, s60
	v_add_co_u32_e32 v58, vcc, s59, v18
	v_addc_co_u32_e32 v59, vcc, v20, v19, vcc
	v_mov_b32_e32 v18, s62
	v_add_co_u32_e32 v60, vcc, s61, v60
	s_add_u32 s12, s20, s56
	s_mul_i32 s22, s26, s14
	s_mul_i32 s48, s38, s14
	v_addc_co_u32_e32 v61, vcc, v18, v16, vcc
	s_addc_u32 s14, s21, s57
	v_lshlrev_b32_e32 v16, 1, v17
	v_mov_b32_e32 v17, s14
	v_add_co_u32_e32 v62, vcc, s12, v23
	v_addc_co_u32_e32 v63, vcc, v17, v24, vcc
	v_add_co_u32_e32 v64, vcc, s12, v25
	v_addc_co_u32_e32 v65, vcc, v17, v26, vcc
	v_ashrrev_i32_e32 v17, 31, v68
	v_add_co_u32_e32 v18, vcc, v82, v68
	v_addc_co_u32_e32 v19, vcc, v83, v17, vcc
	v_add_co_u32_e32 v66, vcc, s59, v18
	v_addc_co_u32_e32 v67, vcc, v20, v19, vcc
	v_mov_b32_e32 v18, s62
	v_add_co_u32_e32 v68, vcc, s61, v68
	v_addc_co_u32_e32 v69, vcc, v18, v17, vcc
	v_mov_b32_e32 v17, s21
	v_add_co_u32_e32 v70, vcc, s20, v27
	v_addc_co_u32_e32 v71, vcc, v17, v28, vcc
	v_add_co_u32_e32 v72, vcc, s20, v29
	v_addc_co_u32_e32 v73, vcc, v17, v30, vcc
	;; [unrolled: 2-line block ×6, first 2 shown]
	v_mov_b32_e32 v17, s55
	v_add_co_u32_e32 v18, vcc, s54, v82
	v_addc_co_u32_e32 v17, vcc, v83, v17, vcc
	v_ashrrev_i32_e32 v19, 31, v84
	v_add_co_u32_e32 v20, vcc, v82, v84
	v_lshlrev_b32_e32 v219, 2, v21
	v_addc_co_u32_e32 v21, vcc, v83, v19, vcc
	v_lshlrev_b32_e32 v220, 2, v22
	v_mov_b32_e32 v22, s60
	v_add_co_u32_e32 v82, vcc, s59, v20
	v_addc_co_u32_e32 v83, vcc, v22, v21, vcc
	v_mov_b32_e32 v20, s62
	v_add_co_u32_e32 v84, vcc, s61, v84
	v_addc_co_u32_e32 v85, vcc, v20, v19, vcc
	;; [unrolled: 3-line block ×3, first 2 shown]
	v_add_co_u32_e32 v88, vcc, s20, v88
	v_addc_co_u32_e32 v89, vcc, v19, v89, vcc
	v_add_co_u32_e32 v90, vcc, s20, v90
	v_addc_co_u32_e32 v91, vcc, v19, v91, vcc
	;; [unrolled: 2-line block ×6, first 2 shown]
	v_ashrrev_i32_e32 v19, 31, v108
	v_add_co_u32_e32 v18, vcc, v18, v108
	v_addc_co_u32_e32 v17, vcc, v17, v19, vcc
	v_mov_b32_e32 v20, s19
	v_add_co_u32_e32 v100, vcc, s18, v18
	v_addc_co_u32_e32 v101, vcc, v20, v17, vcc
	v_mov_b32_e32 v17, s21
	v_add_co_u32_e32 v102, vcc, s20, v102
	v_addc_co_u32_e32 v103, vcc, v17, v103, vcc
	v_add_co_u32_e32 v104, vcc, s20, v104
	s_add_u32 s12, s53, s54
	v_addc_co_u32_e32 v105, vcc, v17, v105, vcc
	s_addc_u32 s14, s52, s55
	v_add_co_u32_e32 v106, vcc, s20, v106
	s_add_u32 s12, s18, s12
	v_addc_co_u32_e32 v107, vcc, v17, v107, vcc
	s_addc_u32 s14, s19, s14
	v_mov_b32_e32 v17, s14
	v_add_co_u32_e32 v108, vcc, s12, v108
	v_addc_co_u32_e32 v109, vcc, v17, v19, vcc
	v_mov_b32_e32 v17, s21
	v_add_co_u32_e32 v110, vcc, s20, v110
	v_addc_co_u32_e32 v111, vcc, v17, v111, vcc
	v_add_co_u32_e32 v112, vcc, s20, v112
	v_addc_co_u32_e32 v113, vcc, v17, v113, vcc
	;; [unrolled: 2-line block ×46, first 2 shown]
	v_mov_b32_e32 v56, 0xfeffffff
	v_add_f32_e32 v222, v1, v1
	v_mov_b32_e32 v1, s15
	v_add_co_u32_e32 v202, vcc, s13, v16
	s_mul_i32 s23, s26, s46
	s_mov_b32 s27, s8
	s_mul_i32 s39, s38, s46
	s_mov_b32 s46, s8
	s_mov_b32 s49, s8
	;; [unrolled: 1-line block ×6, first 2 shown]
	v_mov_b32_e32 v54, v33
	v_mov_b32_e32 v55, v33
	;; [unrolled: 1-line block ×3, first 2 shown]
	v_or_b32_e32 v33, 16, v32
	v_add_f32_e32 v3, v3, v3
	v_add_f32_e32 v5, v5, v5
	;; [unrolled: 1-line block ×7, first 2 shown]
	v_addc_co_u32_e32 v1, vcc, 0, v1, vcc
	v_mov_b32_e32 v223, 0x7f800000
                                        ; implicit-def: $vgpr204
	s_branch .LBB19_18
.LBB19_17:                              ;   in Loop: Header=BB19_18 Depth=1
	v_add_f32_e32 v23, 0x40051340, v16
	v_add_f32_e32 v24, 0x40051340, v18
	v_max3_f32 v23, v56, v23, v24
	v_add_f32_e32 v24, 0x40051340, v20
	v_add_f32_e32 v25, 0x40051340, v31
	v_max3_f32 v23, v23, v24, v25
	v_cndmask_b32_e64 v24, v204, v16, s[2:3]
	v_cndmask_b32_e64 v25, v205, v17, s[2:3]
	v_add_f32_e32 v16, 0x40051340, v17
	v_add_f32_e32 v17, 0x40051340, v19
	v_max3_f32 v26, v57, v16, v17
	v_add_f32_e32 v27, 0x40051340, v21
	v_add_f32_e32 v28, 0x40051340, v22
	v_max3_f32 v26, v26, v27, v28
	v_cndmask_b32_e64 v18, v24, v18, s[4:5]
	v_cndmask_b32_e64 v18, v18, v20, s[16:17]
	ds_bpermute_b32 v20, v218, v26
	v_cndmask_b32_e64 v19, v25, v19, s[4:5]
	v_cndmask_b32_e64 v19, v19, v21, s[16:17]
	ds_bpermute_b32 v21, v218, v23
	v_cndmask_b32_e64 v19, v19, v22, s[10:11]
	s_waitcnt lgkmcnt(1)
	v_max_f32_e32 v20, v20, v20
	v_max_f32_e32 v20, v26, v20
	ds_bpermute_b32 v22, v219, v20
	s_waitcnt lgkmcnt(1)
	v_max_f32_e32 v21, v21, v21
	v_max_f32_e32 v21, v23, v21
	v_mov_b32_e32 v17, v57
	v_mov_b32_e32 v16, v56
	s_waitcnt lgkmcnt(0)
	v_max_f32_e32 v22, v22, v22
	v_max_f32_e32 v20, v20, v22
	ds_bpermute_b32 v22, v219, v21
	v_cndmask_b32_e64 v18, v18, v31, s[10:11]
	v_mov_b32_e32 v224, s8
	s_add_i32 s26, s26, s38
	s_cmp_ge_i32 s26, s37
	s_waitcnt lgkmcnt(0)
	v_max_f32_e32 v22, v22, v22
	v_max_f32_e32 v21, v21, v22
	ds_bpermute_b32 v22, v220, v20
	s_waitcnt lgkmcnt(0)
	v_max_f32_e32 v22, v22, v22
	v_max_f32_e32 v57, v20, v22
	ds_bpermute_b32 v20, v220, v21
	s_waitcnt lgkmcnt(0)
	v_max_f32_e32 v20, v20, v20
	v_max_f32_e32 v56, v21, v20
	v_pk_add_f32 v[18:19], v[18:19], v[56:57] neg_lo:[0,1] neg_hi:[0,1]
	v_mul_f32_e32 v20, 0x3fb8aa3b, v19
	v_fma_f32 v21, v19, s53, -v20
	v_rndne_f32_e32 v22, v20
	v_fmac_f32_e32 v21, 0x32a5705f, v19
	v_sub_f32_e32 v20, v20, v22
	v_add_f32_e32 v20, v20, v21
	v_exp_f32_e32 v20, v20
	v_cvt_i32_f32_e32 v21, v22
	v_cmp_ngt_f32_e32 vcc, s54, v19
	v_cmp_ngt_f32_e64 s[12:13], s54, v18
	v_pk_add_f32 v[16:17], v[16:17], v[56:57] neg_lo:[0,1] neg_hi:[0,1]
	v_ldexp_f32 v20, v20, v21
	v_mul_f32_e32 v21, 0x3fb8aa3b, v18
	v_fma_f32 v22, v18, s53, -v21
	v_rndne_f32_e32 v23, v21
	v_fmac_f32_e32 v22, 0x32a5705f, v18
	v_sub_f32_e32 v21, v21, v23
	v_add_f32_e32 v21, v21, v22
	v_exp_f32_e32 v21, v21
	v_cvt_i32_f32_e32 v22, v23
	v_cndmask_b32_e32 v20, 0, v20, vcc
	v_cmp_nlt_f32_e32 vcc, s55, v19
	v_cmp_ngt_f32_e64 s[18:19], s54, v16
	v_ldexp_f32 v21, v21, v22
	v_cndmask_b32_e64 v19, 0, v21, s[12:13]
	v_cmp_nlt_f32_e64 s[12:13], s55, v18
	v_mul_f32_e32 v18, 0x3fb8aa3b, v17
	v_fma_f32 v21, v17, s53, -v18
	v_rndne_f32_e32 v22, v18
	v_fmac_f32_e32 v21, 0x32a5705f, v17
	v_sub_f32_e32 v18, v18, v22
	v_add_f32_e32 v18, v18, v21
	v_exp_f32_e32 v18, v18
	v_cvt_i32_f32_e32 v21, v22
	v_cmp_ngt_f32_e64 s[14:15], s54, v17
	v_cndmask_b32_e64 v204, v223, v19, s[12:13]
	v_cndmask_b32_e32 v205, v223, v20, vcc
	v_ldexp_f32 v18, v18, v21
	v_mul_f32_e32 v21, 0x3fb8aa3b, v16
	v_fma_f32 v22, v16, s53, -v21
	v_rndne_f32_e32 v23, v21
	v_fmac_f32_e32 v22, 0x32a5705f, v16
	v_sub_f32_e32 v21, v21, v23
	v_add_f32_e32 v21, v21, v22
	v_exp_f32_e32 v21, v21
	v_cvt_i32_f32_e32 v22, v23
	v_cndmask_b32_e64 v18, 0, v18, s[14:15]
	v_cmp_nlt_f32_e64 s[14:15], s55, v17
	v_cndmask_b32_e64 v207, v223, v18, s[14:15]
	v_ldexp_f32 v21, v21, v22
	v_cndmask_b32_e64 v21, 0, v21, s[18:19]
	v_cmp_nlt_f32_e64 s[18:19], s55, v16
	v_add_co_u32_e64 v16, s[20:21], s22, v64
	v_addc_co_u32_e64 v17, s[20:21], v65, v224, s[20:21]
	global_load_dword v22, v[16:17], off offset:2
	v_add_co_u32_e64 v16, s[20:21], s22, v62
	v_addc_co_u32_e64 v17, s[20:21], v63, v224, s[20:21]
	global_load_ushort v16, v[16:17], off
	v_cvt_f16_f32_e32 v17, v204
	v_cndmask_b32_e64 v206, v223, v21, s[18:19]
	v_cvt_f16_f32_e32 v20, v206
	v_pk_fma_f32 v[54:55], v[54:55], v[206:207], v[204:205]
	ds_write_b16 v211, v17
	v_cvt_f16_f32_e32 v17, v205
	ds_write_b16 v211, v17 offset:256
	s_waitcnt vmcnt(1)
	v_cvt_f16_i16_sdwa v17, sext(v22) dst_sel:DWORD dst_unused:UNUSED_PAD src0_sel:BYTE_0
	v_cvt_f16_i16_sdwa v18, sext(v22) dst_sel:DWORD dst_unused:UNUSED_PAD src0_sel:BYTE_1
	v_pack_b32_f16 v17, v17, v18
	v_lshrrev_b32_e32 v18, 16, v22
	v_cvt_f16_i16_sdwa v19, sext(v18) dst_sel:DWORD dst_unused:UNUSED_PAD src0_sel:BYTE_0
	v_cvt_f16_i16_sdwa v18, sext(v18) dst_sel:DWORD dst_unused:UNUSED_PAD src0_sel:BYTE_1
	v_pack_b32_f16 v18, v19, v18
	s_waitcnt vmcnt(0)
	v_pk_mul_f16 v225, v17, v16 op_sel_hi:[1,0]
	v_pk_mul_f16 v230, v16, v18 op_sel_hi:[0,1]
	ds_read_b128 v[28:31], v221
	ds_read_b128 v[16:19], v221 offset:16
	ds_read_b128 v[226:229], v212
	s_waitcnt lgkmcnt(2)
	v_pk_mul_f16 v21, v225, v28 op_sel_hi:[1,0]
	s_waitcnt lgkmcnt(0)
	v_pk_fma_f16 v231, v20, v226, v21 op_sel_hi:[0,1,1]
	v_pk_mul_f16 v21, v230, v28 op_sel_hi:[1,0]
	v_pk_fma_f16 v232, v20, v227, v21 op_sel_hi:[0,1,1]
	ds_read_b128 v[24:27], v221 offset:256
	ds_read_b128 v[20:23], v221 offset:272
	v_cvt_f16_f32_e32 v226, v207
	s_waitcnt lgkmcnt(1)
	v_pk_mul_f16 v225, v225, v24 op_sel_hi:[1,0]
	v_pk_mul_f16 v227, v230, v24 op_sel_hi:[1,0]
	v_pk_fma_f16 v225, v226, v228, v225 op_sel_hi:[0,1,1]
	v_pk_fma_f16 v228, v226, v229, v227 op_sel_hi:[0,1,1]
	v_add_co_u32_e32 v226, vcc, s22, v72
	v_addc_co_u32_e32 v227, vcc, v73, v224, vcc
	global_load_dword v229, v[226:227], off offset:2
	v_add_co_u32_e32 v226, vcc, s22, v70
	v_addc_co_u32_e32 v227, vcc, v71, v224, vcc
	global_load_ushort v230, v[226:227], off
	v_add_co_u32_e32 v226, vcc, s22, v76
	v_addc_co_u32_e32 v227, vcc, v77, v224, vcc
	global_load_dword v233, v[226:227], off offset:2
	v_add_co_u32_e32 v226, vcc, s22, v74
	v_addc_co_u32_e32 v227, vcc, v75, v224, vcc
	global_load_ushort v234, v[226:227], off
	v_add_co_u32_e32 v226, vcc, s22, v80
	v_addc_co_u32_e32 v227, vcc, v81, v224, vcc
	global_load_dword v235, v[226:227], off offset:2
	v_add_co_u32_e32 v226, vcc, s22, v78
	v_addc_co_u32_e32 v227, vcc, v79, v224, vcc
	global_load_ushort v236, v[226:227], off
	v_add_co_u32_e32 v226, vcc, s22, v88
	v_addc_co_u32_e32 v227, vcc, v89, v224, vcc
	global_load_dword v237, v[226:227], off offset:2
	v_add_co_u32_e32 v226, vcc, s22, v86
	v_addc_co_u32_e32 v227, vcc, v87, v224, vcc
	global_load_ushort v238, v[226:227], off
	v_add_co_u32_e32 v226, vcc, s22, v92
	v_addc_co_u32_e32 v227, vcc, v93, v224, vcc
	global_load_dword v239, v[226:227], off offset:2
	v_add_co_u32_e32 v226, vcc, s22, v90
	v_addc_co_u32_e32 v227, vcc, v91, v224, vcc
	global_load_ushort v240, v[226:227], off
	v_add_co_u32_e32 v226, vcc, s22, v96
	v_addc_co_u32_e32 v227, vcc, v97, v224, vcc
	global_load_dword v241, v[226:227], off offset:2
	v_add_co_u32_e32 v226, vcc, s22, v94
	v_addc_co_u32_e32 v227, vcc, v95, v224, vcc
	global_load_ushort v242, v[226:227], off
	v_add_co_u32_e32 v226, vcc, s22, v102
	v_addc_co_u32_e32 v227, vcc, v103, v224, vcc
	global_load_dword v243, v[226:227], off offset:2
	v_add_co_u32_e32 v226, vcc, s22, v98
	v_addc_co_u32_e32 v227, vcc, v99, v224, vcc
	global_load_ushort v226, v[226:227], off
	s_waitcnt vmcnt(13)
	v_cvt_f16_i16_sdwa v227, sext(v229) dst_sel:DWORD dst_unused:UNUSED_PAD src0_sel:BYTE_0
	v_cvt_f16_i16_sdwa v244, sext(v229) dst_sel:DWORD dst_unused:UNUSED_PAD src0_sel:BYTE_1
	v_lshrrev_b32_e32 v229, 16, v229
	v_pack_b32_f16 v227, v227, v244
	v_cvt_f16_i16_sdwa v244, sext(v229) dst_sel:DWORD dst_unused:UNUSED_PAD src0_sel:BYTE_0
	v_cvt_f16_i16_sdwa v229, sext(v229) dst_sel:DWORD dst_unused:UNUSED_PAD src0_sel:BYTE_1
	v_pack_b32_f16 v229, v244, v229
	s_waitcnt vmcnt(12)
	v_pk_mul_f16 v227, v227, v230 op_sel_hi:[1,0]
	v_pk_mul_f16 v229, v230, v229 op_sel_hi:[0,1]
	v_pk_fma_f16 v231, v227, v28, v231 op_sel:[0,1,0]
	s_waitcnt vmcnt(11)
	v_cvt_f16_i16_sdwa v230, sext(v233) dst_sel:DWORD dst_unused:UNUSED_PAD src0_sel:BYTE_0
	v_cvt_f16_i16_sdwa v244, sext(v233) dst_sel:DWORD dst_unused:UNUSED_PAD src0_sel:BYTE_1
	v_lshrrev_b32_e32 v233, 16, v233
	v_pack_b32_f16 v230, v230, v244
	v_cvt_f16_i16_sdwa v244, sext(v233) dst_sel:DWORD dst_unused:UNUSED_PAD src0_sel:BYTE_0
	v_cvt_f16_i16_sdwa v233, sext(v233) dst_sel:DWORD dst_unused:UNUSED_PAD src0_sel:BYTE_1
	v_pack_b32_f16 v233, v244, v233
	s_waitcnt vmcnt(10)
	v_pk_mul_f16 v230, v230, v234 op_sel_hi:[1,0]
	v_pk_mul_f16 v233, v234, v233 op_sel_hi:[0,1]
	v_pk_fma_f16 v28, v229, v28, v232 op_sel:[0,1,0]
	s_waitcnt vmcnt(9)
	v_cvt_f16_i16_sdwa v234, sext(v235) dst_sel:DWORD dst_unused:UNUSED_PAD src0_sel:BYTE_0
	v_cvt_f16_i16_sdwa v244, sext(v235) dst_sel:DWORD dst_unused:UNUSED_PAD src0_sel:BYTE_1
	v_lshrrev_b32_e32 v235, 16, v235
	v_pack_b32_f16 v234, v234, v244
	v_cvt_f16_i16_sdwa v244, sext(v235) dst_sel:DWORD dst_unused:UNUSED_PAD src0_sel:BYTE_0
	v_cvt_f16_i16_sdwa v235, sext(v235) dst_sel:DWORD dst_unused:UNUSED_PAD src0_sel:BYTE_1
	v_pack_b32_f16 v235, v244, v235
	s_waitcnt vmcnt(8)
	v_pk_mul_f16 v234, v234, v236 op_sel_hi:[1,0]
	v_pk_mul_f16 v235, v236, v235 op_sel_hi:[0,1]
	v_pk_fma_f16 v231, v230, v29, v231 op_sel_hi:[1,0,1]
	s_waitcnt vmcnt(7)
	v_cvt_f16_i16_sdwa v236, sext(v237) dst_sel:DWORD dst_unused:UNUSED_PAD src0_sel:BYTE_0
	v_cvt_f16_i16_sdwa v244, sext(v237) dst_sel:DWORD dst_unused:UNUSED_PAD src0_sel:BYTE_1
	v_lshrrev_b32_e32 v237, 16, v237
	v_pack_b32_f16 v236, v236, v244
	v_cvt_f16_i16_sdwa v244, sext(v237) dst_sel:DWORD dst_unused:UNUSED_PAD src0_sel:BYTE_0
	v_cvt_f16_i16_sdwa v237, sext(v237) dst_sel:DWORD dst_unused:UNUSED_PAD src0_sel:BYTE_1
	v_pack_b32_f16 v237, v244, v237
	s_waitcnt vmcnt(6)
	v_pk_mul_f16 v236, v236, v238 op_sel_hi:[1,0]
	v_pk_mul_f16 v237, v238, v237 op_sel_hi:[0,1]
	v_pk_fma_f16 v28, v233, v29, v28 op_sel_hi:[1,0,1]
	s_waitcnt vmcnt(5)
	v_cvt_f16_i16_sdwa v238, sext(v239) dst_sel:DWORD dst_unused:UNUSED_PAD src0_sel:BYTE_0
	v_cvt_f16_i16_sdwa v244, sext(v239) dst_sel:DWORD dst_unused:UNUSED_PAD src0_sel:BYTE_1
	v_lshrrev_b32_e32 v239, 16, v239
	v_pack_b32_f16 v238, v238, v244
	v_cvt_f16_i16_sdwa v244, sext(v239) dst_sel:DWORD dst_unused:UNUSED_PAD src0_sel:BYTE_0
	v_cvt_f16_i16_sdwa v239, sext(v239) dst_sel:DWORD dst_unused:UNUSED_PAD src0_sel:BYTE_1
	v_pack_b32_f16 v239, v244, v239
	v_pk_fma_f16 v231, v234, v29, v231 op_sel:[0,1,0]
	v_pk_fma_f16 v28, v235, v29, v28 op_sel:[0,1,0]
	s_waitcnt vmcnt(4)
	v_pk_mul_f16 v238, v238, v240 op_sel_hi:[1,0]
	v_pk_mul_f16 v239, v240, v239 op_sel_hi:[0,1]
	s_waitcnt vmcnt(3)
	v_cvt_f16_i16_sdwa v240, sext(v241) dst_sel:DWORD dst_unused:UNUSED_PAD src0_sel:BYTE_0
	v_cvt_f16_i16_sdwa v244, sext(v241) dst_sel:DWORD dst_unused:UNUSED_PAD src0_sel:BYTE_1
	v_lshrrev_b32_e32 v241, 16, v241
	v_pk_fma_f16 v29, v236, v30, v231 op_sel_hi:[1,0,1]
	v_pk_fma_f16 v28, v237, v30, v28 op_sel_hi:[1,0,1]
	v_pack_b32_f16 v240, v240, v244
	v_cvt_f16_i16_sdwa v244, sext(v241) dst_sel:DWORD dst_unused:UNUSED_PAD src0_sel:BYTE_0
	v_cvt_f16_i16_sdwa v241, sext(v241) dst_sel:DWORD dst_unused:UNUSED_PAD src0_sel:BYTE_1
	v_pk_fma_f16 v29, v238, v30, v29 op_sel:[0,1,0]
	v_pk_fma_f16 v28, v239, v30, v28 op_sel:[0,1,0]
	;; [unrolled: 1-line block ×4, first 2 shown]
	v_pack_b32_f16 v241, v244, v241
	v_pk_fma_f16 v30, v230, v25, v30 op_sel_hi:[1,0,1]
	v_pk_fma_f16 v24, v233, v25, v24 op_sel_hi:[1,0,1]
	s_waitcnt vmcnt(2)
	v_pk_mul_f16 v240, v240, v242 op_sel_hi:[1,0]
	v_pk_mul_f16 v241, v242, v241 op_sel_hi:[0,1]
	s_waitcnt vmcnt(1)
	v_cvt_f16_i16_sdwa v242, sext(v243) dst_sel:DWORD dst_unused:UNUSED_PAD src0_sel:BYTE_0
	v_cvt_f16_i16_sdwa v244, sext(v243) dst_sel:DWORD dst_unused:UNUSED_PAD src0_sel:BYTE_1
	v_lshrrev_b32_e32 v243, 16, v243
	v_pk_fma_f16 v30, v234, v25, v30 op_sel:[0,1,0]
	v_pk_fma_f16 v24, v235, v25, v24 op_sel:[0,1,0]
	v_pack_b32_f16 v242, v242, v244
	v_cvt_f16_i16_sdwa v244, sext(v243) dst_sel:DWORD dst_unused:UNUSED_PAD src0_sel:BYTE_0
	v_cvt_f16_i16_sdwa v243, sext(v243) dst_sel:DWORD dst_unused:UNUSED_PAD src0_sel:BYTE_1
	v_pk_fma_f16 v25, v236, v26, v30 op_sel_hi:[1,0,1]
	v_pk_fma_f16 v24, v237, v26, v24 op_sel_hi:[1,0,1]
	v_pack_b32_f16 v243, v244, v243
	v_pk_fma_f16 v25, v238, v26, v25 op_sel:[0,1,0]
	v_pk_fma_f16 v24, v239, v26, v24 op_sel:[0,1,0]
	s_waitcnt vmcnt(0)
	v_pk_mul_f16 v242, v242, v226 op_sel_hi:[1,0]
	v_pk_mul_f16 v226, v226, v243 op_sel_hi:[0,1]
	v_pk_fma_f16 v25, v240, v27, v25 op_sel_hi:[1,0,1]
	v_pk_fma_f16 v24, v241, v27, v24 op_sel_hi:[1,0,1]
	v_pk_fma_f16 v26, v242, v27, v25 op_sel:[0,1,0]
	v_pk_fma_f16 v27, v226, v27, v24 op_sel:[0,1,0]
	v_add_co_u32_e32 v24, vcc, s22, v106
	v_addc_co_u32_e32 v25, vcc, v107, v224, vcc
	global_load_dword v30, v[24:25], off offset:2
	v_add_co_u32_e32 v24, vcc, s22, v104
	v_pk_fma_f16 v29, v240, v31, v29 op_sel_hi:[1,0,1]
	v_pk_fma_f16 v28, v241, v31, v28 op_sel_hi:[1,0,1]
	v_addc_co_u32_e32 v25, vcc, v105, v224, vcc
	v_pk_fma_f16 v29, v242, v31, v29 op_sel:[0,1,0]
	v_pk_fma_f16 v28, v226, v31, v28 op_sel:[0,1,0]
	global_load_ushort v31, v[24:25], off
	v_add_co_u32_e32 v24, vcc, s22, v112
	v_addc_co_u32_e32 v25, vcc, v113, v224, vcc
	global_load_dword v225, v[24:25], off offset:2
	v_add_co_u32_e32 v24, vcc, s22, v110
	v_addc_co_u32_e32 v25, vcc, v111, v224, vcc
	global_load_ushort v226, v[24:25], off
	v_add_co_u32_e32 v24, vcc, s22, v198
	v_addc_co_u32_e32 v25, vcc, v199, v224, vcc
	global_load_dword v227, v[24:25], off offset:2
	v_add_co_u32_e32 v24, vcc, s22, v200
	v_addc_co_u32_e32 v25, vcc, v201, v224, vcc
	;; [unrolled: 6-line block ×7, first 2 shown]
	global_load_ushort v24, v[24:25], off
	s_waitcnt vmcnt(15)
	v_cvt_f16_i16_sdwa v25, sext(v30) dst_sel:DWORD dst_unused:UNUSED_PAD src0_sel:BYTE_0
	v_cvt_f16_i16_sdwa v238, sext(v30) dst_sel:DWORD dst_unused:UNUSED_PAD src0_sel:BYTE_1
	v_lshrrev_b32_e32 v30, 16, v30
	v_pack_b32_f16 v25, v25, v238
	v_cvt_f16_i16_sdwa v238, sext(v30) dst_sel:DWORD dst_unused:UNUSED_PAD src0_sel:BYTE_0
	v_cvt_f16_i16_sdwa v30, sext(v30) dst_sel:DWORD dst_unused:UNUSED_PAD src0_sel:BYTE_1
	v_pack_b32_f16 v30, v238, v30
	s_waitcnt vmcnt(14)
	v_pk_mul_f16 v25, v25, v31 op_sel_hi:[1,0]
	v_pk_mul_f16 v30, v31, v30 op_sel_hi:[0,1]
	v_pk_fma_f16 v29, v25, v16, v29 op_sel_hi:[1,0,1]
	v_pk_fma_f16 v28, v30, v16, v28 op_sel_hi:[1,0,1]
	s_waitcnt vmcnt(13)
	v_cvt_f16_i16_sdwa v31, sext(v225) dst_sel:DWORD dst_unused:UNUSED_PAD src0_sel:BYTE_0
	v_cvt_f16_i16_sdwa v238, sext(v225) dst_sel:DWORD dst_unused:UNUSED_PAD src0_sel:BYTE_1
	v_lshrrev_b32_e32 v225, 16, v225
	v_pack_b32_f16 v31, v31, v238
	v_cvt_f16_i16_sdwa v238, sext(v225) dst_sel:DWORD dst_unused:UNUSED_PAD src0_sel:BYTE_0
	v_cvt_f16_i16_sdwa v225, sext(v225) dst_sel:DWORD dst_unused:UNUSED_PAD src0_sel:BYTE_1
	v_pack_b32_f16 v225, v238, v225
	s_waitcnt vmcnt(12)
	v_pk_mul_f16 v31, v31, v226 op_sel_hi:[1,0]
	v_pk_mul_f16 v225, v226, v225 op_sel_hi:[0,1]
	v_pk_fma_f16 v29, v31, v16, v29 op_sel:[0,1,0]
	s_waitcnt vmcnt(11)
	v_cvt_f16_i16_sdwa v226, sext(v227) dst_sel:DWORD dst_unused:UNUSED_PAD src0_sel:BYTE_0
	v_cvt_f16_i16_sdwa v238, sext(v227) dst_sel:DWORD dst_unused:UNUSED_PAD src0_sel:BYTE_1
	v_lshrrev_b32_e32 v227, 16, v227
	v_pack_b32_f16 v226, v226, v238
	v_cvt_f16_i16_sdwa v238, sext(v227) dst_sel:DWORD dst_unused:UNUSED_PAD src0_sel:BYTE_0
	v_cvt_f16_i16_sdwa v227, sext(v227) dst_sel:DWORD dst_unused:UNUSED_PAD src0_sel:BYTE_1
	v_pack_b32_f16 v227, v238, v227
	s_waitcnt vmcnt(10)
	v_pk_mul_f16 v226, v226, v228 op_sel_hi:[1,0]
	v_pk_mul_f16 v227, v228, v227 op_sel_hi:[0,1]
	v_pk_fma_f16 v16, v225, v16, v28 op_sel:[0,1,0]
	s_waitcnt vmcnt(9)
	v_cvt_f16_i16_sdwa v228, sext(v229) dst_sel:DWORD dst_unused:UNUSED_PAD src0_sel:BYTE_0
	v_cvt_f16_i16_sdwa v238, sext(v229) dst_sel:DWORD dst_unused:UNUSED_PAD src0_sel:BYTE_1
	v_lshrrev_b32_e32 v229, 16, v229
	v_pack_b32_f16 v228, v228, v238
	v_cvt_f16_i16_sdwa v238, sext(v229) dst_sel:DWORD dst_unused:UNUSED_PAD src0_sel:BYTE_0
	v_cvt_f16_i16_sdwa v229, sext(v229) dst_sel:DWORD dst_unused:UNUSED_PAD src0_sel:BYTE_1
	v_pack_b32_f16 v229, v238, v229
	s_waitcnt vmcnt(8)
	v_pk_mul_f16 v228, v228, v230 op_sel_hi:[1,0]
	v_pk_mul_f16 v229, v230, v229 op_sel_hi:[0,1]
	v_pk_fma_f16 v16, v227, v17, v16 op_sel_hi:[1,0,1]
	s_waitcnt vmcnt(7)
	v_cvt_f16_i16_sdwa v230, sext(v231) dst_sel:DWORD dst_unused:UNUSED_PAD src0_sel:BYTE_0
	v_cvt_f16_i16_sdwa v238, sext(v231) dst_sel:DWORD dst_unused:UNUSED_PAD src0_sel:BYTE_1
	v_lshrrev_b32_e32 v231, 16, v231
	v_pack_b32_f16 v230, v230, v238
	v_cvt_f16_i16_sdwa v238, sext(v231) dst_sel:DWORD dst_unused:UNUSED_PAD src0_sel:BYTE_0
	v_cvt_f16_i16_sdwa v231, sext(v231) dst_sel:DWORD dst_unused:UNUSED_PAD src0_sel:BYTE_1
	v_pack_b32_f16 v231, v238, v231
	s_waitcnt vmcnt(6)
	v_pk_mul_f16 v230, v230, v232 op_sel_hi:[1,0]
	v_pk_mul_f16 v231, v232, v231 op_sel_hi:[0,1]
	v_pk_fma_f16 v28, v226, v17, v29 op_sel_hi:[1,0,1]
	s_waitcnt vmcnt(5)
	v_cvt_f16_i16_sdwa v232, sext(v233) dst_sel:DWORD dst_unused:UNUSED_PAD src0_sel:BYTE_0
	v_cvt_f16_i16_sdwa v238, sext(v233) dst_sel:DWORD dst_unused:UNUSED_PAD src0_sel:BYTE_1
	v_lshrrev_b32_e32 v233, 16, v233
	v_pack_b32_f16 v232, v232, v238
	v_cvt_f16_i16_sdwa v238, sext(v233) dst_sel:DWORD dst_unused:UNUSED_PAD src0_sel:BYTE_0
	v_cvt_f16_i16_sdwa v233, sext(v233) dst_sel:DWORD dst_unused:UNUSED_PAD src0_sel:BYTE_1
	v_pack_b32_f16 v233, v238, v233
	s_waitcnt vmcnt(4)
	v_pk_mul_f16 v232, v232, v234 op_sel_hi:[1,0]
	v_pk_mul_f16 v233, v234, v233 op_sel_hi:[0,1]
	v_pk_fma_f16 v16, v229, v17, v16 op_sel:[0,1,0]
	s_waitcnt vmcnt(3)
	v_cvt_f16_i16_sdwa v234, sext(v235) dst_sel:DWORD dst_unused:UNUSED_PAD src0_sel:BYTE_0
	v_cvt_f16_i16_sdwa v238, sext(v235) dst_sel:DWORD dst_unused:UNUSED_PAD src0_sel:BYTE_1
	v_lshrrev_b32_e32 v235, 16, v235
	v_pack_b32_f16 v234, v234, v238
	v_cvt_f16_i16_sdwa v238, sext(v235) dst_sel:DWORD dst_unused:UNUSED_PAD src0_sel:BYTE_0
	v_cvt_f16_i16_sdwa v235, sext(v235) dst_sel:DWORD dst_unused:UNUSED_PAD src0_sel:BYTE_1
	v_pack_b32_f16 v235, v238, v235
	s_waitcnt vmcnt(2)
	v_pk_mul_f16 v234, v234, v236 op_sel_hi:[1,0]
	v_pk_mul_f16 v235, v236, v235 op_sel_hi:[0,1]
	v_pk_fma_f16 v28, v228, v17, v28 op_sel:[0,1,0]
	s_waitcnt vmcnt(1)
	v_cvt_f16_i16_sdwa v236, sext(v237) dst_sel:DWORD dst_unused:UNUSED_PAD src0_sel:BYTE_0
	v_cvt_f16_i16_sdwa v238, sext(v237) dst_sel:DWORD dst_unused:UNUSED_PAD src0_sel:BYTE_1
	v_lshrrev_b32_e32 v237, 16, v237
	v_pack_b32_f16 v236, v236, v238
	v_cvt_f16_i16_sdwa v238, sext(v237) dst_sel:DWORD dst_unused:UNUSED_PAD src0_sel:BYTE_0
	v_cvt_f16_i16_sdwa v237, sext(v237) dst_sel:DWORD dst_unused:UNUSED_PAD src0_sel:BYTE_1
	v_pk_fma_f16 v16, v231, v18, v16 op_sel_hi:[1,0,1]
	v_pack_b32_f16 v237, v238, v237
	v_pk_fma_f16 v17, v230, v18, v28 op_sel_hi:[1,0,1]
	v_pk_fma_f16 v16, v233, v18, v16 op_sel:[0,1,0]
	s_waitcnt vmcnt(0)
	v_pk_mul_f16 v236, v236, v24 op_sel_hi:[1,0]
	v_pk_mul_f16 v24, v24, v237 op_sel_hi:[0,1]
	v_pk_fma_f16 v17, v232, v18, v17 op_sel:[0,1,0]
	v_pk_fma_f16 v16, v235, v19, v16 op_sel_hi:[1,0,1]
	v_pk_fma_f16 v17, v234, v19, v17 op_sel_hi:[1,0,1]
	v_pk_fma_f16 v29, v24, v19, v16 op_sel:[0,1,0]
	s_waitcnt lgkmcnt(0)
	v_pk_fma_f16 v16, v25, v20, v26 op_sel_hi:[1,0,1]
	v_pk_fma_f16 v28, v236, v19, v17 op_sel:[0,1,0]
	v_pk_fma_f16 v17, v30, v20, v27 op_sel_hi:[1,0,1]
	v_pk_fma_f16 v16, v31, v20, v16 op_sel:[0,1,0]
	v_pk_fma_f16 v17, v225, v20, v17 op_sel:[0,1,0]
	v_pk_fma_f16 v16, v226, v21, v16 op_sel_hi:[1,0,1]
	v_pk_fma_f16 v17, v227, v21, v17 op_sel_hi:[1,0,1]
	v_pk_fma_f16 v16, v228, v21, v16 op_sel:[0,1,0]
	v_pk_fma_f16 v17, v229, v21, v17 op_sel:[0,1,0]
	v_pk_fma_f16 v16, v230, v22, v16 op_sel_hi:[1,0,1]
	;; [unrolled: 4-line block ×3, first 2 shown]
	v_pk_fma_f16 v17, v235, v23, v17 op_sel_hi:[1,0,1]
	v_pk_fma_f16 v30, v236, v23, v16 op_sel:[0,1,0]
	v_add_co_u32_e32 v16, vcc, s22, v174
	v_pk_fma_f16 v31, v24, v23, v17 op_sel:[0,1,0]
	v_addc_co_u32_e32 v17, vcc, v175, v224, vcc
	global_load_dword v18, v[16:17], off offset:2
	v_add_co_u32_e32 v16, vcc, s22, v176
	v_addc_co_u32_e32 v17, vcc, v177, v224, vcc
	global_load_ushort v19, v[16:17], off
	v_add_co_u32_e32 v16, vcc, s22, v170
	v_addc_co_u32_e32 v17, vcc, v171, v224, vcc
	global_load_dword v20, v[16:17], off offset:2
	v_add_co_u32_e32 v16, vcc, s22, v172
	v_addc_co_u32_e32 v17, vcc, v173, v224, vcc
	global_load_ushort v21, v[16:17], off
	v_add_co_u32_e32 v16, vcc, s22, v166
	;; [unrolled: 6-line block ×7, first 2 shown]
	v_addc_co_u32_e32 v17, vcc, v147, v224, vcc
	global_load_dword v229, v[16:17], off offset:2
	v_add_co_u32_e32 v16, vcc, s22, v148
	v_addc_co_u32_e32 v17, vcc, v149, v224, vcc
	global_load_ushort v16, v[16:17], off
	s_waitcnt vmcnt(15)
	v_cvt_f16_i16_sdwa v17, sext(v18) dst_sel:DWORD dst_unused:UNUSED_PAD src0_sel:BYTE_0
	v_cvt_f16_i16_sdwa v230, sext(v18) dst_sel:DWORD dst_unused:UNUSED_PAD src0_sel:BYTE_1
	v_lshrrev_b32_e32 v18, 16, v18
	v_pack_b32_f16 v17, v17, v230
	v_cvt_f16_i16_sdwa v230, sext(v18) dst_sel:DWORD dst_unused:UNUSED_PAD src0_sel:BYTE_0
	v_cvt_f16_i16_sdwa v18, sext(v18) dst_sel:DWORD dst_unused:UNUSED_PAD src0_sel:BYTE_1
	v_pack_b32_f16 v18, v230, v18
	s_waitcnt vmcnt(14)
	v_pk_mul_f16 v230, v17, v19 op_sel_hi:[1,0]
	v_pk_mul_f16 v231, v19, v18 op_sel_hi:[0,1]
	s_waitcnt vmcnt(13)
	v_cvt_f16_i16_sdwa v17, sext(v20) dst_sel:DWORD dst_unused:UNUSED_PAD src0_sel:BYTE_0
	v_cvt_f16_i16_sdwa v18, sext(v20) dst_sel:DWORD dst_unused:UNUSED_PAD src0_sel:BYTE_1
	v_pack_b32_f16 v17, v17, v18
	v_lshrrev_b32_e32 v18, 16, v20
	v_cvt_f16_i16_sdwa v19, sext(v18) dst_sel:DWORD dst_unused:UNUSED_PAD src0_sel:BYTE_0
	v_cvt_f16_i16_sdwa v18, sext(v18) dst_sel:DWORD dst_unused:UNUSED_PAD src0_sel:BYTE_1
	v_pack_b32_f16 v18, v19, v18
	s_waitcnt vmcnt(12)
	v_pk_mul_f16 v232, v17, v21 op_sel_hi:[1,0]
	v_pk_mul_f16 v233, v21, v18 op_sel_hi:[0,1]
	s_waitcnt vmcnt(11)
	v_cvt_f16_i16_sdwa v17, sext(v22) dst_sel:DWORD dst_unused:UNUSED_PAD src0_sel:BYTE_0
	v_cvt_f16_i16_sdwa v18, sext(v22) dst_sel:DWORD dst_unused:UNUSED_PAD src0_sel:BYTE_1
	v_pack_b32_f16 v17, v17, v18
	v_lshrrev_b32_e32 v18, 16, v22
	;; [unrolled: 11-line block ×7, first 2 shown]
	v_cvt_f16_i16_sdwa v19, sext(v18) dst_sel:DWORD dst_unused:UNUSED_PAD src0_sel:BYTE_0
	v_cvt_f16_i16_sdwa v18, sext(v18) dst_sel:DWORD dst_unused:UNUSED_PAD src0_sel:BYTE_1
	v_pack_b32_f16 v18, v19, v18
	s_waitcnt vmcnt(0)
	v_pk_mul_f16 v229, v17, v16 op_sel_hi:[1,0]
	v_pk_mul_f16 v240, v16, v18 op_sel_hi:[0,1]
	ds_read_b128 v[20:23], v221 offset:32
	ds_read_b128 v[16:19], v221 offset:48
	s_waitcnt lgkmcnt(1)
	v_pk_fma_f16 v24, v230, v20, v28 op_sel_hi:[1,0,1]
	v_pk_fma_f16 v25, v231, v20, v29 op_sel_hi:[1,0,1]
	v_pk_fma_f16 v24, v232, v20, v24 op_sel:[0,1,0]
	v_pk_fma_f16 v20, v233, v20, v25 op_sel:[0,1,0]
	v_pk_fma_f16 v24, v234, v21, v24 op_sel_hi:[1,0,1]
	v_pk_fma_f16 v20, v235, v21, v20 op_sel_hi:[1,0,1]
	v_pk_fma_f16 v24, v236, v21, v24 op_sel:[0,1,0]
	v_pk_fma_f16 v20, v237, v21, v20 op_sel:[0,1,0]
	;; [unrolled: 4-line block ×4, first 2 shown]
	ds_read_b128 v[24:27], v221 offset:288
	ds_read_b128 v[20:23], v221 offset:304
	s_waitcnt lgkmcnt(1)
	v_pk_fma_f16 v30, v230, v24, v30 op_sel_hi:[1,0,1]
	v_pk_fma_f16 v31, v231, v24, v31 op_sel_hi:[1,0,1]
	v_pk_fma_f16 v30, v232, v24, v30 op_sel:[0,1,0]
	v_pk_fma_f16 v24, v233, v24, v31 op_sel:[0,1,0]
	v_pk_fma_f16 v30, v234, v25, v30 op_sel_hi:[1,0,1]
	v_pk_fma_f16 v24, v235, v25, v24 op_sel_hi:[1,0,1]
	v_pk_fma_f16 v30, v236, v25, v30 op_sel:[0,1,0]
	v_pk_fma_f16 v24, v237, v25, v24 op_sel:[0,1,0]
	;; [unrolled: 4-line block ×4, first 2 shown]
	v_add_co_u32_e32 v24, vcc, s22, v142
	v_addc_co_u32_e32 v25, vcc, v143, v224, vcc
	global_load_dword v30, v[24:25], off offset:2
	v_add_co_u32_e32 v24, vcc, s22, v144
	v_addc_co_u32_e32 v25, vcc, v145, v224, vcc
	global_load_ushort v31, v[24:25], off
	v_add_co_u32_e32 v24, vcc, s22, v138
	v_addc_co_u32_e32 v25, vcc, v139, v224, vcc
	global_load_dword v225, v[24:25], off offset:2
	v_add_co_u32_e32 v24, vcc, s22, v140
	v_addc_co_u32_e32 v25, vcc, v141, v224, vcc
	global_load_ushort v226, v[24:25], off
	;; [unrolled: 6-line block ×8, first 2 shown]
	v_add_co_u32_e32 v50, vcc, s44, v50
	s_waitcnt vmcnt(15)
	v_cvt_f16_i16_sdwa v25, sext(v30) dst_sel:DWORD dst_unused:UNUSED_PAD src0_sel:BYTE_0
	v_cvt_f16_i16_sdwa v224, sext(v30) dst_sel:DWORD dst_unused:UNUSED_PAD src0_sel:BYTE_1
	v_lshrrev_b32_e32 v30, 16, v30
	v_pack_b32_f16 v25, v25, v224
	v_cvt_f16_i16_sdwa v224, sext(v30) dst_sel:DWORD dst_unused:UNUSED_PAD src0_sel:BYTE_0
	v_cvt_f16_i16_sdwa v30, sext(v30) dst_sel:DWORD dst_unused:UNUSED_PAD src0_sel:BYTE_1
	v_pack_b32_f16 v30, v224, v30
	s_waitcnt vmcnt(14)
	v_pk_mul_f16 v25, v25, v31 op_sel_hi:[1,0]
	v_pk_mul_f16 v30, v31, v30 op_sel_hi:[0,1]
	v_pk_fma_f16 v28, v25, v16, v28 op_sel_hi:[1,0,1]
	s_waitcnt vmcnt(13)
	v_cvt_f16_i16_sdwa v31, sext(v225) dst_sel:DWORD dst_unused:UNUSED_PAD src0_sel:BYTE_0
	v_cvt_f16_i16_sdwa v224, sext(v225) dst_sel:DWORD dst_unused:UNUSED_PAD src0_sel:BYTE_1
	v_pack_b32_f16 v31, v31, v224
	v_lshrrev_b32_e32 v224, 16, v225
	v_cvt_f16_i16_sdwa v225, sext(v224) dst_sel:DWORD dst_unused:UNUSED_PAD src0_sel:BYTE_0
	v_cvt_f16_i16_sdwa v224, sext(v224) dst_sel:DWORD dst_unused:UNUSED_PAD src0_sel:BYTE_1
	v_pack_b32_f16 v224, v225, v224
	s_waitcnt vmcnt(12)
	v_pk_mul_f16 v31, v31, v226 op_sel_hi:[1,0]
	v_pk_mul_f16 v224, v226, v224 op_sel_hi:[0,1]
	v_pk_fma_f16 v29, v30, v16, v29 op_sel_hi:[1,0,1]
	s_waitcnt vmcnt(11)
	v_cvt_f16_i16_sdwa v225, sext(v227) dst_sel:DWORD dst_unused:UNUSED_PAD src0_sel:BYTE_0
	v_cvt_f16_i16_sdwa v226, sext(v227) dst_sel:DWORD dst_unused:UNUSED_PAD src0_sel:BYTE_1
	v_pack_b32_f16 v225, v225, v226
	v_lshrrev_b32_e32 v226, 16, v227
	v_cvt_f16_i16_sdwa v227, sext(v226) dst_sel:DWORD dst_unused:UNUSED_PAD src0_sel:BYTE_0
	v_cvt_f16_i16_sdwa v226, sext(v226) dst_sel:DWORD dst_unused:UNUSED_PAD src0_sel:BYTE_1
	v_pack_b32_f16 v226, v227, v226
	s_waitcnt vmcnt(10)
	v_pk_mul_f16 v225, v225, v228 op_sel_hi:[1,0]
	v_pk_mul_f16 v226, v228, v226 op_sel_hi:[0,1]
	v_pk_fma_f16 v28, v31, v16, v28 op_sel:[0,1,0]
	s_waitcnt vmcnt(9)
	v_cvt_f16_i16_sdwa v227, sext(v229) dst_sel:DWORD dst_unused:UNUSED_PAD src0_sel:BYTE_0
	v_cvt_f16_i16_sdwa v228, sext(v229) dst_sel:DWORD dst_unused:UNUSED_PAD src0_sel:BYTE_1
	v_pack_b32_f16 v227, v227, v228
	v_lshrrev_b32_e32 v228, 16, v229
	v_cvt_f16_i16_sdwa v229, sext(v228) dst_sel:DWORD dst_unused:UNUSED_PAD src0_sel:BYTE_0
	v_cvt_f16_i16_sdwa v228, sext(v228) dst_sel:DWORD dst_unused:UNUSED_PAD src0_sel:BYTE_1
	v_pack_b32_f16 v228, v229, v228
	s_waitcnt vmcnt(8)
	v_pk_mul_f16 v227, v227, v230 op_sel_hi:[1,0]
	v_pk_mul_f16 v228, v230, v228 op_sel_hi:[0,1]
	v_pk_fma_f16 v16, v224, v16, v29 op_sel:[0,1,0]
	s_waitcnt vmcnt(7)
	v_cvt_f16_i16_sdwa v229, sext(v231) dst_sel:DWORD dst_unused:UNUSED_PAD src0_sel:BYTE_0
	v_cvt_f16_i16_sdwa v230, sext(v231) dst_sel:DWORD dst_unused:UNUSED_PAD src0_sel:BYTE_1
	v_pack_b32_f16 v229, v229, v230
	v_lshrrev_b32_e32 v230, 16, v231
	v_cvt_f16_i16_sdwa v231, sext(v230) dst_sel:DWORD dst_unused:UNUSED_PAD src0_sel:BYTE_0
	v_cvt_f16_i16_sdwa v230, sext(v230) dst_sel:DWORD dst_unused:UNUSED_PAD src0_sel:BYTE_1
	v_pack_b32_f16 v230, v231, v230
	s_waitcnt vmcnt(6)
	v_pk_mul_f16 v229, v229, v232 op_sel_hi:[1,0]
	v_pk_mul_f16 v230, v232, v230 op_sel_hi:[0,1]
	v_pk_fma_f16 v28, v225, v17, v28 op_sel_hi:[1,0,1]
	s_waitcnt vmcnt(5)
	v_cvt_f16_i16_sdwa v231, sext(v233) dst_sel:DWORD dst_unused:UNUSED_PAD src0_sel:BYTE_0
	v_cvt_f16_i16_sdwa v232, sext(v233) dst_sel:DWORD dst_unused:UNUSED_PAD src0_sel:BYTE_1
	v_pack_b32_f16 v231, v231, v232
	v_lshrrev_b32_e32 v232, 16, v233
	v_cvt_f16_i16_sdwa v233, sext(v232) dst_sel:DWORD dst_unused:UNUSED_PAD src0_sel:BYTE_0
	v_cvt_f16_i16_sdwa v232, sext(v232) dst_sel:DWORD dst_unused:UNUSED_PAD src0_sel:BYTE_1
	v_pack_b32_f16 v232, v233, v232
	s_waitcnt vmcnt(4)
	v_pk_mul_f16 v231, v231, v234 op_sel_hi:[1,0]
	v_pk_mul_f16 v232, v234, v232 op_sel_hi:[0,1]
	v_pk_fma_f16 v16, v226, v17, v16 op_sel_hi:[1,0,1]
	s_waitcnt vmcnt(3)
	v_cvt_f16_i16_sdwa v233, sext(v235) dst_sel:DWORD dst_unused:UNUSED_PAD src0_sel:BYTE_0
	v_cvt_f16_i16_sdwa v234, sext(v235) dst_sel:DWORD dst_unused:UNUSED_PAD src0_sel:BYTE_1
	v_pack_b32_f16 v233, v233, v234
	v_lshrrev_b32_e32 v234, 16, v235
	v_cvt_f16_i16_sdwa v235, sext(v234) dst_sel:DWORD dst_unused:UNUSED_PAD src0_sel:BYTE_0
	v_cvt_f16_i16_sdwa v234, sext(v234) dst_sel:DWORD dst_unused:UNUSED_PAD src0_sel:BYTE_1
	v_pack_b32_f16 v234, v235, v234
	s_waitcnt vmcnt(2)
	v_pk_mul_f16 v233, v233, v236 op_sel_hi:[1,0]
	v_pk_mul_f16 v234, v236, v234 op_sel_hi:[0,1]
	v_pk_fma_f16 v28, v227, v17, v28 op_sel:[0,1,0]
	s_waitcnt vmcnt(1)
	v_cvt_f16_i16_sdwa v235, sext(v237) dst_sel:DWORD dst_unused:UNUSED_PAD src0_sel:BYTE_0
	v_cvt_f16_i16_sdwa v236, sext(v237) dst_sel:DWORD dst_unused:UNUSED_PAD src0_sel:BYTE_1
	v_pack_b32_f16 v235, v235, v236
	v_lshrrev_b32_e32 v236, 16, v237
	v_pk_fma_f16 v16, v228, v17, v16 op_sel:[0,1,0]
	v_cvt_f16_i16_sdwa v237, sext(v236) dst_sel:DWORD dst_unused:UNUSED_PAD src0_sel:BYTE_0
	v_cvt_f16_i16_sdwa v236, sext(v236) dst_sel:DWORD dst_unused:UNUSED_PAD src0_sel:BYTE_1
	v_pk_fma_f16 v17, v229, v18, v28 op_sel_hi:[1,0,1]
	v_pk_fma_f16 v16, v230, v18, v16 op_sel_hi:[1,0,1]
	v_pack_b32_f16 v236, v237, v236
	v_pk_fma_f16 v17, v231, v18, v17 op_sel:[0,1,0]
	v_pk_fma_f16 v16, v232, v18, v16 op_sel:[0,1,0]
	s_waitcnt vmcnt(0)
	v_pk_mul_f16 v235, v235, v24 op_sel_hi:[1,0]
	v_pk_mul_f16 v24, v24, v236 op_sel_hi:[0,1]
	v_pk_fma_f16 v17, v233, v19, v17 op_sel_hi:[1,0,1]
	v_pk_fma_f16 v18, v234, v19, v16 op_sel_hi:[1,0,1]
	v_pk_fma_f16 v16, v235, v19, v17 op_sel:[0,1,0]
	v_pk_fma_f16 v17, v24, v19, v18 op_sel:[0,1,0]
	s_waitcnt lgkmcnt(0)
	v_pk_fma_f16 v18, v25, v20, v26 op_sel_hi:[1,0,1]
	v_pk_fma_f16 v19, v30, v20, v27 op_sel_hi:[1,0,1]
	v_pk_fma_f16 v18, v31, v20, v18 op_sel:[0,1,0]
	v_pk_fma_f16 v19, v224, v20, v19 op_sel:[0,1,0]
	v_pk_fma_f16 v18, v225, v21, v18 op_sel_hi:[1,0,1]
	v_pk_fma_f16 v19, v226, v21, v19 op_sel_hi:[1,0,1]
	v_pk_fma_f16 v18, v227, v21, v18 op_sel:[0,1,0]
	v_pk_fma_f16 v19, v228, v21, v19 op_sel:[0,1,0]
	;; [unrolled: 4-line block ×4, first 2 shown]
	ds_write_b128 v212, v[16:19]
	v_mov_b32_e32 v16, s45
	v_addc_co_u32_e32 v51, vcc, v51, v16, vcc
	v_add_co_u32_e32 v202, vcc, s44, v202
	v_addc_co_u32_e32 v1, vcc, v1, v16, vcc
	v_add_co_u32_e32 v52, vcc, s44, v52
	v_addc_co_u32_e32 v53, vcc, v53, v16, vcc
	v_mov_b32_e32 v16, s46
	v_add_co_u32_e32 v58, vcc, s39, v58
	v_addc_co_u32_e32 v59, vcc, v59, v16, vcc
	v_add_co_u32_e32 v60, vcc, s39, v60
	v_addc_co_u32_e32 v61, vcc, v61, v16, vcc
	;; [unrolled: 2-line block ×8, first 2 shown]
	v_mov_b32_e32 v16, s49
	v_add_co_u32_e32 v62, vcc, s48, v62
	v_addc_co_u32_e32 v63, vcc, v63, v16, vcc
	v_add_co_u32_e32 v64, vcc, s48, v64
	v_addc_co_u32_e32 v65, vcc, v65, v16, vcc
	;; [unrolled: 2-line block ×64, first 2 shown]
	s_cbranch_scc1 .LBB19_34
.LBB19_18:                              ; =>This Inner Loop Header: Depth=1
	v_mov_b32_e32 v16, s27
	v_add_co_u32_e32 v22, vcc, s23, v108
	v_addc_co_u32_e32 v23, vcc, v109, v16, vcc
	v_add_co_u32_e32 v24, vcc, s23, v100
	v_addc_co_u32_e32 v25, vcc, v101, v16, vcc
	global_load_dword v17, v[22:23], off
	global_load_ushort v16, v[22:23], off offset:4
	global_load_dword v21, v[24:25], off offset:6
	global_load_dword v18, v[22:23], off offset:22
	global_load_ushort v26, v[22:23], off offset:26
	global_load_dword v27, v[24:25], off offset:28
	global_load_dword v19, v[22:23], off offset:44
	;; [unrolled: 3-line block ×3, first 2 shown]
	global_load_ushort v30, v[22:23], off offset:70
	global_load_dword v31, v[24:25], off offset:72
	s_and_b64 vcc, exec, s[40:41]
	s_waitcnt vmcnt(10)
	v_perm_b32 v16, v17, v16, s52
	s_waitcnt vmcnt(9)
	v_and_b32_e32 v22, 0xf0f0f0f, v21
	v_lshrrev_b32_e32 v21, 4, v21
	s_waitcnt vmcnt(7)
	v_perm_b32 v23, v18, v26, s52
	s_waitcnt vmcnt(6)
	v_and_b32_e32 v24, 0xf0f0f0f, v27
	v_lshrrev_b32_e32 v25, 4, v27
	;; [unrolled: 5-line block ×3, first 2 shown]
	v_ashrrev_i32_e32 v29, v32, v16
	v_ashrrev_i32_e32 v16, v33, v16
	;; [unrolled: 1-line block ×5, first 2 shown]
	v_lshlrev_b32_e32 v26, 4, v29
	v_lshlrev_b32_e32 v225, 11, v29
	;; [unrolled: 1-line block ×4, first 2 shown]
	v_ashrrev_i32_e32 v23, v33, v23
	v_lshlrev_b32_e32 v227, 4, v16
	v_lshlrev_b32_e32 v228, 11, v16
	;; [unrolled: 1-line block ×12, first 2 shown]
	v_and_b32_e32 v226, 0x100000, v226
	v_and_b32_e32 v29, 0x10000000, v29
	;; [unrolled: 1-line block ×3, first 2 shown]
	v_lshlrev_b32_e32 v233, 4, v23
	v_lshlrev_b32_e32 v234, 11, v23
	;; [unrolled: 1-line block ×4, first 2 shown]
	v_and_b32_e32 v26, 16, v26
	v_and_b32_e32 v225, 0x1000, v225
	;; [unrolled: 1-line block ×8, first 2 shown]
	v_or3_b32 v22, v29, v22, v226
	v_and_b32_e32 v25, 0xf0f0f0f, v25
	v_and_b32_e32 v227, 16, v227
	;; [unrolled: 1-line block ×9, first 2 shown]
	v_or3_b32 v16, v16, v21, v229
	v_or3_b32 v21, v206, v24, v232
	;; [unrolled: 1-line block ×4, first 2 shown]
	v_and_b32_e32 v22, 0xf0f0f0f, v28
	v_lshlrev_b32_e32 v28, 18, v224
	v_lshlrev_b32_e32 v29, 25, v224
	v_or3_b32 v23, v23, v25, v235
	v_or3_b32 v26, v16, v227, v228
	;; [unrolled: 1-line block ×4, first 2 shown]
	v_lshlrev_b32_e32 v16, 4, v224
	v_lshlrev_b32_e32 v24, 11, v224
	v_and_b32_e32 v28, 0x100000, v28
	v_and_b32_e32 v29, 0x10000000, v29
	v_and_b32_e32 v16, 16, v16
	v_and_b32_e32 v24, 0x1000, v24
	v_or3_b32 v22, v29, v22, v28
	v_or3_b32 v22, v22, v16, v24
	s_waitcnt vmcnt(1)
	v_perm_b32 v16, v20, v30, s52
	v_ashrrev_i32_e32 v24, v32, v16
	v_lshlrev_b32_e32 v28, 4, v24
	v_lshlrev_b32_e32 v30, 11, v24
	;; [unrolled: 1-line block ×4, first 2 shown]
	s_waitcnt vmcnt(0)
	v_and_b32_e32 v29, 0xf0f0f0f, v31
	v_and_b32_e32 v206, 0x100000, v206
	;; [unrolled: 1-line block ×5, first 2 shown]
	v_or3_b32 v24, v24, v29, v206
	v_ashrrev_i32_e32 v16, v33, v16
	v_or3_b32 v24, v24, v28, v30
	v_lshrrev_b32_e32 v28, 4, v31
	v_lshlrev_b32_e32 v29, 4, v16
	v_lshlrev_b32_e32 v30, 11, v16
	;; [unrolled: 1-line block ×4, first 2 shown]
	v_and_b32_e32 v28, 0xf0f0f0f, v28
	v_and_b32_e32 v31, 0x100000, v31
	;; [unrolled: 1-line block ×3, first 2 shown]
	v_or3_b32 v16, v16, v28, v31
	v_mov_b32_e32 v28, 0
	v_dot4c_i32_i8_e32 v28, v27, v34
	v_and_b32_e32 v29, 16, v29
	v_and_b32_e32 v30, 0x1000, v30
	;; [unrolled: 1-line block ×3, first 2 shown]
	v_cvt_f32_i32_e32 v31, v28
	v_mov_b32_e32 v28, 0
	v_dot4c_i32_i8_e32 v28, v26, v35
	v_and_b32_e32 v234, 0x1000, v234
	v_or3_b32 v23, v23, v233, v234
	s_nop 0
	v_cvt_f32_i32_e32 v206, v28
	v_or3_b32 v28, v16, v29, v30
	v_mov_b32_e32 v30, 0
	v_fma_f32 v16, v0, v31, -v222
	v_dot4c_i32_i8_e32 v30, v25, v36
	v_mov_b32_e32 v31, 0
	v_dot4c_i32_i8_e32 v31, v23, v37
	v_fma_mix_f32 v16, v16, v17, 0 op_sel_hi:[0,1,0]
	v_cvt_f32_i32_e32 v30, v30
	v_fma_f32 v29, v0, v206, -v222
	v_cvt_f32_i32_e32 v31, v31
	v_fma_mix_f32 v16, v29, v17, v16 op_sel_hi:[0,1,0]
	v_fma_f32 v29, v2, v30, -v3
	v_mov_b32_e32 v30, 0
	v_fma_mix_f32 v16, v29, v18, v16 op_sel_hi:[0,1,0]
	v_fma_f32 v29, v2, v31, -v3
	v_dot4c_i32_i8_e32 v30, v21, v38
	v_mov_b32_e32 v31, 0
	v_dot4c_i32_i8_e32 v31, v22, v39
	v_fma_mix_f32 v16, v29, v18, v16 op_sel_hi:[0,1,0]
	v_cvt_f32_i32_e32 v30, v30
	v_fma_f32 v29, v4, v30, -v5
	v_cvt_f32_i32_e32 v31, v31
	v_mov_b32_e32 v30, 0
	v_fma_mix_f32 v16, v29, v19, v16 op_sel_hi:[0,1,0]
	v_dot4c_i32_i8_e32 v30, v24, v40
	v_fma_f32 v29, v4, v31, -v5
	v_mov_b32_e32 v31, 0
	v_dot4c_i32_i8_e32 v31, v28, v41
	v_cvt_f32_i32_e32 v30, v30
	v_fma_mix_f32 v16, v29, v19, v16 op_sel_hi:[0,1,0]
	v_fma_f32 v29, v6, v30, -v7
	v_cvt_f32_i32_e32 v31, v31
	v_fma_mix_f32 v16, v29, v20, v16 op_sel_hi:[0,1,0]
	v_fma_f32 v29, v6, v31, -v7
	v_fma_mix_f32 v16, v29, v20, v16 op_sel_hi:[0,1,0]
	ds_bpermute_b32 v29, v216, v16
	s_waitcnt lgkmcnt(0)
	v_add_f32_e32 v16, v16, v29
	ds_bpermute_b32 v29, v217, v16
	s_waitcnt lgkmcnt(0)
	v_add_f32_e32 v16, v16, v29
	s_cbranch_vccz .LBB19_20
; %bb.19:                               ;   in Loop: Header=BB19_18 Depth=1
	v_mov_b32_e32 v29, s51
	v_add_co_u32_e32 v30, vcc, s47, v202
	v_addc_co_u32_e32 v31, vcc, v1, v29, vcc
	global_load_ushort v29, v[30:31], off
	s_waitcnt vmcnt(0)
	v_fma_mix_f32 v16, v214, v29, v16 op_sel_hi:[0,1,0]
.LBB19_20:                              ;   in Loop: Header=BB19_18 Depth=1
	v_mov_b32_e32 v29, 0
	v_dot4c_i32_i8_e32 v29, v27, v42
	v_cvt_f32_f16_e32 v17, v17
	v_cvt_f32_f16_e32 v18, v18
	;; [unrolled: 1-line block ×3, first 2 shown]
	v_cvt_f32_i32_e32 v27, v29
	v_mov_b32_e32 v29, 0
	v_dot4c_i32_i8_e32 v29, v26, v43
	v_cvt_f32_f16_e32 v20, v20
	v_fma_f32 v27, v8, v27, -v9
	v_fma_f32 v27, v27, v17, 0
	v_cvt_f32_i32_e32 v26, v29
	v_mov_b32_e32 v29, 0
	v_dot4c_i32_i8_e32 v29, v25, v44
	s_andn2_b64 vcc, exec, s[42:43]
	v_fma_f32 v26, v8, v26, -v9
	v_fmac_f32_e32 v27, v26, v17
	v_cvt_f32_i32_e32 v25, v29
	v_mov_b32_e32 v29, 0
	v_dot4c_i32_i8_e32 v29, v23, v45
	v_fma_f32 v17, v10, v25, -v11
	v_fmac_f32_e32 v27, v17, v18
	s_nop 0
	v_cvt_f32_i32_e32 v23, v29
	v_fma_f32 v17, v10, v23, -v11
	v_mov_b32_e32 v23, 0
	v_dot4c_i32_i8_e32 v23, v21, v46
	v_fmac_f32_e32 v27, v17, v18
	v_mov_b32_e32 v18, 0
	v_dot4c_i32_i8_e32 v18, v24, v48
	v_cvt_f32_i32_e32 v21, v23
	v_mov_b32_e32 v23, 0
	v_dot4c_i32_i8_e32 v23, v22, v47
	v_cvt_f32_i32_e32 v18, v18
	v_fma_f32 v17, v12, v21, -v13
	v_mov_b32_e32 v21, 0
	v_cvt_f32_i32_e32 v22, v23
	v_dot4c_i32_i8_e32 v21, v28, v49
	v_fmac_f32_e32 v27, v17, v19
	v_fma_f32 v17, v12, v22, -v13
	s_nop 0
	v_cvt_f32_i32_e32 v21, v21
	v_fmac_f32_e32 v27, v17, v19
	v_fma_f32 v17, v14, v18, -v15
	v_fmac_f32_e32 v27, v17, v20
	v_fma_f32 v17, v14, v21, -v15
	v_fmac_f32_e32 v27, v17, v20
	ds_bpermute_b32 v17, v216, v27
	v_cndmask_b32_e64 v19, 0, 1, s[42:43]
	v_cmp_ne_u32_e64 s[12:13], 1, v19
	s_waitcnt lgkmcnt(0)
	v_add_f32_e32 v17, v27, v17
	ds_bpermute_b32 v18, v217, v17
	s_waitcnt lgkmcnt(0)
	v_add_f32_e32 v17, v17, v18
	s_cbranch_vccnz .LBB19_22
; %bb.21:                               ;   in Loop: Header=BB19_18 Depth=1
	v_mov_b32_e32 v19, s51
	v_add_co_u32_e32 v18, vcc, s47, v50
	v_addc_co_u32_e32 v19, vcc, v51, v19, vcc
	global_load_ushort v18, v[18:19], off
	s_waitcnt vmcnt(0)
	v_fma_mix_f32 v17, v214, v18, v17 op_sel_hi:[0,1,0]
.LBB19_22:                              ;   in Loop: Header=BB19_18 Depth=1
	v_mov_b32_e32 v18, s27
	v_add_co_u32_e32 v24, vcc, s23, v84
	v_addc_co_u32_e32 v25, vcc, v85, v18, vcc
	v_add_co_u32_e32 v26, vcc, s23, v82
	v_addc_co_u32_e32 v27, vcc, v83, v18, vcc
	global_load_dword v19, v[24:25], off
	global_load_ushort v18, v[24:25], off offset:4
	global_load_dword v23, v[26:27], off offset:6
	global_load_dword v20, v[24:25], off offset:22
	global_load_ushort v28, v[24:25], off offset:26
	global_load_dword v29, v[26:27], off offset:28
	global_load_dword v21, v[24:25], off offset:44
	;; [unrolled: 3-line block ×3, first 2 shown]
	global_load_ushort v206, v[24:25], off offset:70
	global_load_dword v207, v[26:27], off offset:72
	s_andn2_b64 vcc, exec, s[40:41]
	s_waitcnt vmcnt(10)
	v_perm_b32 v18, v19, v18, s52
	s_waitcnt vmcnt(9)
	v_and_b32_e32 v24, 0xf0f0f0f, v23
	v_lshrrev_b32_e32 v23, 4, v23
	s_waitcnt vmcnt(7)
	v_perm_b32 v25, v20, v28, s52
	s_waitcnt vmcnt(6)
	v_and_b32_e32 v26, 0xf0f0f0f, v29
	v_lshrrev_b32_e32 v27, 4, v29
	s_waitcnt vmcnt(4)
	v_perm_b32 v28, v21, v30, s52
	s_waitcnt vmcnt(3)
	v_and_b32_e32 v29, 0xf0f0f0f, v31
	v_lshrrev_b32_e32 v30, 4, v31
	v_ashrrev_i32_e32 v31, v32, v18
	v_ashrrev_i32_e32 v18, v33, v18
	;; [unrolled: 1-line block ×5, first 2 shown]
	v_lshlrev_b32_e32 v28, 4, v31
	v_lshlrev_b32_e32 v227, 11, v31
	;; [unrolled: 1-line block ×4, first 2 shown]
	v_ashrrev_i32_e32 v25, v33, v25
	v_lshlrev_b32_e32 v229, 4, v18
	v_lshlrev_b32_e32 v230, 11, v18
	;; [unrolled: 1-line block ×12, first 2 shown]
	v_and_b32_e32 v228, 0x100000, v228
	v_and_b32_e32 v31, 0x10000000, v31
	v_and_b32_e32 v23, 0xf0f0f0f, v23
	v_lshlrev_b32_e32 v235, 4, v25
	v_lshlrev_b32_e32 v236, 11, v25
	;; [unrolled: 1-line block ×4, first 2 shown]
	v_and_b32_e32 v28, 16, v28
	v_and_b32_e32 v227, 0x1000, v227
	;; [unrolled: 1-line block ×8, first 2 shown]
	v_or3_b32 v24, v31, v24, v228
	v_and_b32_e32 v27, 0xf0f0f0f, v27
	v_and_b32_e32 v229, 16, v229
	;; [unrolled: 1-line block ×9, first 2 shown]
	v_or3_b32 v18, v18, v23, v231
	v_or3_b32 v23, v224, v26, v234
	v_or3_b32 v26, v225, v29, v240
	v_or3_b32 v29, v24, v28, v227
	v_and_b32_e32 v24, 0xf0f0f0f, v30
	v_lshlrev_b32_e32 v30, 18, v226
	v_lshlrev_b32_e32 v31, 25, v226
	v_or3_b32 v25, v25, v27, v237
	v_or3_b32 v28, v18, v229, v230
	v_or3_b32 v27, v23, v232, v233
	v_or3_b32 v23, v26, v238, v239
	v_lshlrev_b32_e32 v18, 4, v226
	v_lshlrev_b32_e32 v26, 11, v226
	v_and_b32_e32 v30, 0x100000, v30
	v_and_b32_e32 v31, 0x10000000, v31
	;; [unrolled: 1-line block ×4, first 2 shown]
	v_or3_b32 v24, v31, v24, v30
	v_or3_b32 v24, v24, v18, v26
	s_waitcnt vmcnt(1)
	v_perm_b32 v18, v22, v206, s52
	v_ashrrev_i32_e32 v26, v32, v18
	v_lshlrev_b32_e32 v30, 4, v26
	v_lshlrev_b32_e32 v206, 11, v26
	v_lshlrev_b32_e32 v224, 18, v26
	v_lshlrev_b32_e32 v26, 25, v26
	s_waitcnt vmcnt(0)
	v_and_b32_e32 v31, 0xf0f0f0f, v207
	v_and_b32_e32 v224, 0x100000, v224
	;; [unrolled: 1-line block ×5, first 2 shown]
	v_or3_b32 v26, v26, v31, v224
	v_ashrrev_i32_e32 v18, v33, v18
	v_or3_b32 v26, v26, v30, v206
	v_lshrrev_b32_e32 v30, 4, v207
	v_lshlrev_b32_e32 v31, 4, v18
	v_lshlrev_b32_e32 v206, 11, v18
	;; [unrolled: 1-line block ×4, first 2 shown]
	v_and_b32_e32 v30, 0xf0f0f0f, v30
	v_and_b32_e32 v207, 0x100000, v207
	;; [unrolled: 1-line block ×3, first 2 shown]
	v_or3_b32 v18, v18, v30, v207
	v_mov_b32_e32 v30, 0
	v_dot4c_i32_i8_e32 v30, v29, v34
	v_and_b32_e32 v31, 16, v31
	v_and_b32_e32 v206, 0x1000, v206
	;; [unrolled: 1-line block ×3, first 2 shown]
	v_cvt_f32_i32_e32 v207, v30
	v_mov_b32_e32 v30, 0
	v_dot4c_i32_i8_e32 v30, v28, v35
	v_and_b32_e32 v236, 0x1000, v236
	v_or3_b32 v25, v25, v235, v236
	s_nop 0
	v_cvt_f32_i32_e32 v224, v30
	v_or3_b32 v30, v18, v31, v206
	v_mov_b32_e32 v206, 0
	v_fma_f32 v18, v0, v207, -v222
	v_dot4c_i32_i8_e32 v206, v27, v36
	v_mov_b32_e32 v207, 0
	v_dot4c_i32_i8_e32 v207, v25, v37
	v_fma_mix_f32 v18, v18, v19, 0 op_sel_hi:[0,1,0]
	v_cvt_f32_i32_e32 v206, v206
	v_fma_f32 v31, v0, v224, -v222
	v_cvt_f32_i32_e32 v207, v207
	v_fma_mix_f32 v18, v31, v19, v18 op_sel_hi:[0,1,0]
	v_fma_f32 v31, v2, v206, -v3
	v_mov_b32_e32 v206, 0
	v_fma_mix_f32 v18, v31, v20, v18 op_sel_hi:[0,1,0]
	v_fma_f32 v31, v2, v207, -v3
	v_dot4c_i32_i8_e32 v206, v23, v38
	v_mov_b32_e32 v207, 0
	v_dot4c_i32_i8_e32 v207, v24, v39
	v_fma_mix_f32 v18, v31, v20, v18 op_sel_hi:[0,1,0]
	v_cvt_f32_i32_e32 v206, v206
	v_fma_f32 v31, v4, v206, -v5
	v_cvt_f32_i32_e32 v207, v207
	v_mov_b32_e32 v206, 0
	v_fma_mix_f32 v18, v31, v21, v18 op_sel_hi:[0,1,0]
	v_dot4c_i32_i8_e32 v206, v26, v40
	v_fma_f32 v31, v4, v207, -v5
	v_mov_b32_e32 v207, 0
	v_dot4c_i32_i8_e32 v207, v30, v41
	v_cvt_f32_i32_e32 v206, v206
	v_fma_mix_f32 v18, v31, v21, v18 op_sel_hi:[0,1,0]
	v_fma_f32 v31, v6, v206, -v7
	v_cvt_f32_i32_e32 v207, v207
	v_fma_mix_f32 v18, v31, v22, v18 op_sel_hi:[0,1,0]
	v_cndmask_b32_e64 v206, 0, 1, s[40:41]
	v_cmp_ne_u32_e64 s[14:15], 1, v206
	v_fma_f32 v31, v6, v207, -v7
	v_fma_mix_f32 v18, v31, v22, v18 op_sel_hi:[0,1,0]
	ds_bpermute_b32 v31, v216, v18
	s_waitcnt lgkmcnt(0)
	v_add_f32_e32 v18, v18, v31
	ds_bpermute_b32 v31, v217, v18
	s_waitcnt lgkmcnt(0)
	v_add_f32_e32 v18, v18, v31
	s_cbranch_vccnz .LBB19_24
; %bb.23:                               ;   in Loop: Header=BB19_18 Depth=1
	v_mov_b32_e32 v31, s51
	v_add_co_u32_e32 v206, vcc, s47, v202
	v_addc_co_u32_e32 v207, vcc, v1, v31, vcc
	global_load_ushort v31, v[206:207], off offset:2
	s_waitcnt vmcnt(0)
	v_fma_mix_f32 v18, v214, v31, v18 op_sel_hi:[0,1,0]
.LBB19_24:                              ;   in Loop: Header=BB19_18 Depth=1
	v_mov_b32_e32 v31, 0
	v_dot4c_i32_i8_e32 v31, v29, v42
	v_cvt_f32_f16_e32 v19, v19
	v_cvt_f32_f16_e32 v20, v20
	;; [unrolled: 1-line block ×3, first 2 shown]
	v_cvt_f32_i32_e32 v29, v31
	v_mov_b32_e32 v31, 0
	v_dot4c_i32_i8_e32 v31, v28, v43
	v_cvt_f32_f16_e32 v22, v22
	v_fma_f32 v29, v8, v29, -v9
	v_fma_f32 v29, v29, v19, 0
	v_cvt_f32_i32_e32 v28, v31
	v_mov_b32_e32 v31, 0
	v_dot4c_i32_i8_e32 v31, v27, v44
	s_and_b64 vcc, exec, s[12:13]
	v_fma_f32 v28, v8, v28, -v9
	v_fmac_f32_e32 v29, v28, v19
	v_cvt_f32_i32_e32 v27, v31
	v_mov_b32_e32 v31, 0
	v_dot4c_i32_i8_e32 v31, v25, v45
	v_fma_f32 v19, v10, v27, -v11
	v_fmac_f32_e32 v29, v19, v20
	s_nop 0
	v_cvt_f32_i32_e32 v25, v31
	v_fma_f32 v19, v10, v25, -v11
	v_mov_b32_e32 v25, 0
	v_dot4c_i32_i8_e32 v25, v23, v46
	v_fmac_f32_e32 v29, v19, v20
	v_mov_b32_e32 v20, 0
	v_dot4c_i32_i8_e32 v20, v26, v48
	v_cvt_f32_i32_e32 v23, v25
	v_mov_b32_e32 v25, 0
	v_dot4c_i32_i8_e32 v25, v24, v47
	v_cvt_f32_i32_e32 v20, v20
	v_fma_f32 v19, v12, v23, -v13
	v_mov_b32_e32 v23, 0
	v_cvt_f32_i32_e32 v24, v25
	v_dot4c_i32_i8_e32 v23, v30, v49
	v_fmac_f32_e32 v29, v19, v21
	v_fma_f32 v19, v12, v24, -v13
	s_nop 0
	v_cvt_f32_i32_e32 v23, v23
	v_fmac_f32_e32 v29, v19, v21
	v_fma_f32 v19, v14, v20, -v15
	v_fmac_f32_e32 v29, v19, v22
	v_fma_f32 v19, v14, v23, -v15
	v_fmac_f32_e32 v29, v19, v22
	ds_bpermute_b32 v19, v216, v29
	s_waitcnt lgkmcnt(0)
	v_add_f32_e32 v19, v29, v19
	ds_bpermute_b32 v20, v217, v19
	s_waitcnt lgkmcnt(0)
	v_add_f32_e32 v19, v19, v20
	s_cbranch_vccnz .LBB19_26
; %bb.25:                               ;   in Loop: Header=BB19_18 Depth=1
	v_mov_b32_e32 v21, s51
	v_add_co_u32_e32 v20, vcc, s47, v52
	v_addc_co_u32_e32 v21, vcc, v53, v21, vcc
	global_load_ushort v20, v[20:21], off offset:2
	s_waitcnt vmcnt(0)
	v_fma_mix_f32 v19, v214, v20, v19 op_sel_hi:[0,1,0]
.LBB19_26:                              ;   in Loop: Header=BB19_18 Depth=1
	v_mov_b32_e32 v20, s27
	v_add_co_u32_e32 v26, vcc, s23, v68
	v_addc_co_u32_e32 v27, vcc, v69, v20, vcc
	v_add_co_u32_e32 v28, vcc, s23, v66
	v_addc_co_u32_e32 v29, vcc, v67, v20, vcc
	global_load_dword v21, v[26:27], off
	global_load_ushort v20, v[26:27], off offset:4
	global_load_dword v25, v[28:29], off offset:6
	global_load_dword v22, v[26:27], off offset:22
	global_load_ushort v30, v[26:27], off offset:26
	global_load_dword v31, v[28:29], off offset:28
	global_load_dword v23, v[26:27], off offset:44
	;; [unrolled: 3-line block ×3, first 2 shown]
	global_load_ushort v224, v[26:27], off offset:70
	global_load_dword v225, v[28:29], off offset:72
	s_and_b64 vcc, exec, s[14:15]
	s_waitcnt vmcnt(10)
	v_perm_b32 v20, v21, v20, s52
	s_waitcnt vmcnt(9)
	v_and_b32_e32 v26, 0xf0f0f0f, v25
	v_lshrrev_b32_e32 v25, 4, v25
	s_waitcnt vmcnt(7)
	v_perm_b32 v27, v22, v30, s52
	s_waitcnt vmcnt(6)
	v_and_b32_e32 v28, 0xf0f0f0f, v31
	v_lshrrev_b32_e32 v29, 4, v31
	;; [unrolled: 5-line block ×3, first 2 shown]
	v_ashrrev_i32_e32 v207, v32, v20
	v_ashrrev_i32_e32 v20, v33, v20
	;; [unrolled: 1-line block ×5, first 2 shown]
	v_lshlrev_b32_e32 v30, 4, v207
	v_lshlrev_b32_e32 v229, 11, v207
	;; [unrolled: 1-line block ×4, first 2 shown]
	v_ashrrev_i32_e32 v27, v33, v27
	v_lshlrev_b32_e32 v231, 4, v20
	v_lshlrev_b32_e32 v232, 11, v20
	;; [unrolled: 1-line block ×12, first 2 shown]
	v_and_b32_e32 v230, 0x100000, v230
	v_and_b32_e32 v207, 0x10000000, v207
	;; [unrolled: 1-line block ×3, first 2 shown]
	v_lshlrev_b32_e32 v237, 4, v27
	v_lshlrev_b32_e32 v238, 11, v27
	;; [unrolled: 1-line block ×4, first 2 shown]
	v_and_b32_e32 v30, 16, v30
	v_and_b32_e32 v229, 0x1000, v229
	;; [unrolled: 1-line block ×8, first 2 shown]
	v_or3_b32 v26, v207, v26, v230
	v_and_b32_e32 v29, 0xf0f0f0f, v29
	v_and_b32_e32 v231, 16, v231
	;; [unrolled: 1-line block ×9, first 2 shown]
	v_or3_b32 v20, v20, v25, v233
	v_or3_b32 v25, v226, v28, v236
	;; [unrolled: 1-line block ×4, first 2 shown]
	v_and_b32_e32 v26, 0xf0f0f0f, v206
	v_lshlrev_b32_e32 v206, 18, v228
	v_lshlrev_b32_e32 v207, 25, v228
	v_or3_b32 v27, v27, v29, v239
	v_or3_b32 v30, v20, v231, v232
	;; [unrolled: 1-line block ×4, first 2 shown]
	v_lshlrev_b32_e32 v20, 4, v228
	v_lshlrev_b32_e32 v28, 11, v228
	v_and_b32_e32 v206, 0x100000, v206
	v_and_b32_e32 v207, 0x10000000, v207
	;; [unrolled: 1-line block ×4, first 2 shown]
	v_or3_b32 v26, v207, v26, v206
	v_or3_b32 v26, v26, v20, v28
	s_waitcnt vmcnt(1)
	v_perm_b32 v20, v24, v224, s52
	v_ashrrev_i32_e32 v28, v32, v20
	v_lshlrev_b32_e32 v206, 4, v28
	v_lshlrev_b32_e32 v224, 11, v28
	;; [unrolled: 1-line block ×4, first 2 shown]
	s_waitcnt vmcnt(0)
	v_and_b32_e32 v207, 0xf0f0f0f, v225
	v_and_b32_e32 v226, 0x100000, v226
	;; [unrolled: 1-line block ×5, first 2 shown]
	v_or3_b32 v28, v28, v207, v226
	v_ashrrev_i32_e32 v20, v33, v20
	v_or3_b32 v28, v28, v206, v224
	v_lshrrev_b32_e32 v206, 4, v225
	v_lshlrev_b32_e32 v207, 4, v20
	v_lshlrev_b32_e32 v224, 11, v20
	;; [unrolled: 1-line block ×4, first 2 shown]
	v_and_b32_e32 v206, 0xf0f0f0f, v206
	v_and_b32_e32 v225, 0x100000, v225
	;; [unrolled: 1-line block ×3, first 2 shown]
	v_or3_b32 v20, v20, v206, v225
	v_mov_b32_e32 v206, 0
	v_dot4c_i32_i8_e32 v206, v31, v34
	v_and_b32_e32 v207, 16, v207
	v_and_b32_e32 v224, 0x1000, v224
	;; [unrolled: 1-line block ×3, first 2 shown]
	v_cvt_f32_i32_e32 v225, v206
	v_mov_b32_e32 v206, 0
	v_dot4c_i32_i8_e32 v206, v30, v35
	v_and_b32_e32 v238, 0x1000, v238
	v_or3_b32 v27, v27, v237, v238
	s_nop 0
	v_cvt_f32_i32_e32 v226, v206
	v_or3_b32 v206, v20, v207, v224
	v_mov_b32_e32 v224, 0
	v_fma_f32 v20, v0, v225, -v222
	v_dot4c_i32_i8_e32 v224, v29, v36
	v_mov_b32_e32 v225, 0
	v_dot4c_i32_i8_e32 v225, v27, v37
	v_fma_mix_f32 v20, v20, v21, 0 op_sel_hi:[0,1,0]
	v_cvt_f32_i32_e32 v224, v224
	v_fma_f32 v207, v0, v226, -v222
	v_cvt_f32_i32_e32 v225, v225
	v_fma_mix_f32 v20, v207, v21, v20 op_sel_hi:[0,1,0]
	v_fma_f32 v207, v2, v224, -v3
	v_mov_b32_e32 v224, 0
	v_fma_mix_f32 v20, v207, v22, v20 op_sel_hi:[0,1,0]
	v_fma_f32 v207, v2, v225, -v3
	v_dot4c_i32_i8_e32 v224, v25, v38
	v_mov_b32_e32 v225, 0
	v_dot4c_i32_i8_e32 v225, v26, v39
	v_fma_mix_f32 v20, v207, v22, v20 op_sel_hi:[0,1,0]
	v_cvt_f32_i32_e32 v224, v224
	v_fma_f32 v207, v4, v224, -v5
	v_cvt_f32_i32_e32 v225, v225
	v_mov_b32_e32 v224, 0
	v_fma_mix_f32 v20, v207, v23, v20 op_sel_hi:[0,1,0]
	v_dot4c_i32_i8_e32 v224, v28, v40
	v_fma_f32 v207, v4, v225, -v5
	v_mov_b32_e32 v225, 0
	v_dot4c_i32_i8_e32 v225, v206, v41
	v_cvt_f32_i32_e32 v224, v224
	v_fma_mix_f32 v20, v207, v23, v20 op_sel_hi:[0,1,0]
	v_fma_f32 v207, v6, v224, -v7
	v_cvt_f32_i32_e32 v225, v225
	v_fma_mix_f32 v20, v207, v24, v20 op_sel_hi:[0,1,0]
	v_fma_f32 v207, v6, v225, -v7
	v_fma_mix_f32 v20, v207, v24, v20 op_sel_hi:[0,1,0]
	ds_bpermute_b32 v207, v216, v20
	s_waitcnt lgkmcnt(0)
	v_add_f32_e32 v20, v20, v207
	ds_bpermute_b32 v207, v217, v20
	s_waitcnt lgkmcnt(0)
	v_add_f32_e32 v20, v20, v207
	s_cbranch_vccnz .LBB19_28
; %bb.27:                               ;   in Loop: Header=BB19_18 Depth=1
	v_mov_b32_e32 v207, s51
	v_add_co_u32_e32 v224, vcc, s47, v202
	v_addc_co_u32_e32 v225, vcc, v1, v207, vcc
	global_load_ushort v207, v[224:225], off offset:4
	s_waitcnt vmcnt(0)
	v_fma_mix_f32 v20, v214, v207, v20 op_sel_hi:[0,1,0]
.LBB19_28:                              ;   in Loop: Header=BB19_18 Depth=1
	v_mov_b32_e32 v207, 0
	v_dot4c_i32_i8_e32 v207, v31, v42
	v_cvt_f32_f16_e32 v21, v21
	v_cvt_f32_f16_e32 v22, v22
	;; [unrolled: 1-line block ×3, first 2 shown]
	v_cvt_f32_i32_e32 v31, v207
	v_mov_b32_e32 v207, 0
	v_dot4c_i32_i8_e32 v207, v30, v43
	v_cvt_f32_f16_e32 v24, v24
	v_fma_f32 v31, v8, v31, -v9
	v_fma_f32 v31, v31, v21, 0
	v_cvt_f32_i32_e32 v30, v207
	v_mov_b32_e32 v207, 0
	v_dot4c_i32_i8_e32 v207, v29, v44
	s_and_b64 vcc, exec, s[12:13]
	v_fma_f32 v30, v8, v30, -v9
	v_fmac_f32_e32 v31, v30, v21
	v_cvt_f32_i32_e32 v29, v207
	v_mov_b32_e32 v207, 0
	v_dot4c_i32_i8_e32 v207, v27, v45
	v_fma_f32 v21, v10, v29, -v11
	v_fmac_f32_e32 v31, v21, v22
	s_nop 0
	v_cvt_f32_i32_e32 v27, v207
	v_fma_f32 v21, v10, v27, -v11
	v_mov_b32_e32 v27, 0
	v_dot4c_i32_i8_e32 v27, v25, v46
	v_fmac_f32_e32 v31, v21, v22
	v_mov_b32_e32 v22, 0
	v_dot4c_i32_i8_e32 v22, v28, v48
	v_cvt_f32_i32_e32 v25, v27
	v_mov_b32_e32 v27, 0
	v_dot4c_i32_i8_e32 v27, v26, v47
	v_cvt_f32_i32_e32 v22, v22
	v_fma_f32 v21, v12, v25, -v13
	v_mov_b32_e32 v25, 0
	v_cvt_f32_i32_e32 v26, v27
	v_dot4c_i32_i8_e32 v25, v206, v49
	v_fmac_f32_e32 v31, v21, v23
	v_fma_f32 v21, v12, v26, -v13
	s_nop 0
	v_cvt_f32_i32_e32 v25, v25
	v_fmac_f32_e32 v31, v21, v23
	v_fma_f32 v21, v14, v22, -v15
	v_fmac_f32_e32 v31, v21, v24
	v_fma_f32 v21, v14, v25, -v15
	v_fmac_f32_e32 v31, v21, v24
	ds_bpermute_b32 v21, v216, v31
	s_waitcnt lgkmcnt(0)
	v_add_f32_e32 v21, v31, v21
	ds_bpermute_b32 v22, v217, v21
	s_waitcnt lgkmcnt(0)
	v_add_f32_e32 v21, v21, v22
	s_cbranch_vccnz .LBB19_30
; %bb.29:                               ;   in Loop: Header=BB19_18 Depth=1
	v_mov_b32_e32 v23, s51
	v_add_co_u32_e32 v22, vcc, s47, v52
	v_addc_co_u32_e32 v23, vcc, v53, v23, vcc
	global_load_ushort v22, v[22:23], off offset:4
	s_waitcnt vmcnt(0)
	v_fma_mix_f32 v21, v214, v22, v21 op_sel_hi:[0,1,0]
.LBB19_30:                              ;   in Loop: Header=BB19_18 Depth=1
	v_mov_b32_e32 v22, s27
	v_add_co_u32_e32 v26, vcc, s23, v60
	v_addc_co_u32_e32 v27, vcc, v61, v22, vcc
	v_add_co_u32_e32 v28, vcc, s23, v58
	v_addc_co_u32_e32 v29, vcc, v59, v22, vcc
	global_load_dword v22, v[26:27], off
	global_load_ushort v30, v[26:27], off offset:4
	global_load_dword v31, v[28:29], off offset:6
	global_load_dword v23, v[26:27], off offset:22
	global_load_ushort v206, v[26:27], off offset:26
	global_load_dword v207, v[28:29], off offset:28
	global_load_dword v24, v[26:27], off offset:44
	;; [unrolled: 3-line block ×3, first 2 shown]
	global_load_ushort v226, v[26:27], off offset:70
	global_load_dword v227, v[28:29], off offset:72
	s_and_b64 vcc, exec, s[14:15]
	s_waitcnt vmcnt(10)
	v_perm_b32 v26, v22, v30, s52
	s_waitcnt vmcnt(9)
	v_and_b32_e32 v27, 0xf0f0f0f, v31
	v_lshrrev_b32_e32 v28, 4, v31
	s_waitcnt vmcnt(7)
	v_perm_b32 v29, v23, v206, s52
	s_waitcnt vmcnt(6)
	v_and_b32_e32 v30, 0xf0f0f0f, v207
	v_lshrrev_b32_e32 v31, 4, v207
	;; [unrolled: 5-line block ×3, first 2 shown]
	v_ashrrev_i32_e32 v225, v32, v26
	v_ashrrev_i32_e32 v26, v33, v26
	;; [unrolled: 1-line block ×5, first 2 shown]
	v_lshlrev_b32_e32 v233, 4, v26
	v_lshlrev_b32_e32 v234, 11, v26
	;; [unrolled: 1-line block ×12, first 2 shown]
	v_and_b32_e32 v28, 0xf0f0f0f, v28
	v_and_b32_e32 v31, 0xf0f0f0f, v31
	v_ashrrev_i32_e32 v230, v33, v206
	v_lshlrev_b32_e32 v206, 4, v225
	v_lshlrev_b32_e32 v231, 11, v225
	;; [unrolled: 1-line block ×8, first 2 shown]
	v_and_b32_e32 v235, 0x100000, v235
	v_and_b32_e32 v26, 0x10000000, v26
	;; [unrolled: 1-line block ×14, first 2 shown]
	v_or3_b32 v26, v26, v28, v235
	v_or3_b32 v28, v228, v30, v238
	;; [unrolled: 1-line block ×3, first 2 shown]
	v_and_b32_e32 v206, 16, v206
	v_and_b32_e32 v231, 0x1000, v231
	;; [unrolled: 1-line block ×6, first 2 shown]
	v_or3_b32 v27, v225, v27, v232
	v_or3_b32 v31, v229, v207, v244
	;; [unrolled: 1-line block ×4, first 2 shown]
	v_and_b32_e32 v29, 0xf0f0f0f, v224
	v_lshlrev_b32_e32 v224, 18, v230
	v_lshlrev_b32_e32 v225, 25, v230
	v_or3_b32 v207, v27, v206, v231
	v_or3_b32 v206, v26, v233, v234
	v_or3_b32 v26, v31, v242, v243
	v_lshlrev_b32_e32 v27, 4, v230
	v_lshlrev_b32_e32 v31, 11, v230
	v_and_b32_e32 v224, 0x100000, v224
	v_and_b32_e32 v225, 0x10000000, v225
	;; [unrolled: 1-line block ×4, first 2 shown]
	v_or3_b32 v29, v225, v29, v224
	v_or3_b32 v27, v29, v27, v31
	s_waitcnt vmcnt(1)
	v_perm_b32 v31, v25, v226, s52
	v_ashrrev_i32_e32 v29, v32, v31
	v_lshlrev_b32_e32 v224, 4, v29
	v_lshlrev_b32_e32 v226, 11, v29
	;; [unrolled: 1-line block ×4, first 2 shown]
	s_waitcnt vmcnt(0)
	v_and_b32_e32 v225, 0xf0f0f0f, v227
	v_and_b32_e32 v228, 0x100000, v228
	;; [unrolled: 1-line block ×5, first 2 shown]
	v_or3_b32 v29, v29, v225, v228
	v_ashrrev_i32_e32 v31, v33, v31
	v_or3_b32 v29, v29, v224, v226
	v_lshrrev_b32_e32 v224, 4, v227
	v_lshlrev_b32_e32 v225, 4, v31
	v_lshlrev_b32_e32 v226, 11, v31
	;; [unrolled: 1-line block ×4, first 2 shown]
	v_and_b32_e32 v224, 0xf0f0f0f, v224
	v_and_b32_e32 v227, 0x100000, v227
	;; [unrolled: 1-line block ×3, first 2 shown]
	v_or3_b32 v31, v31, v224, v227
	v_mov_b32_e32 v224, 0
	v_dot4c_i32_i8_e32 v224, v207, v34
	v_and_b32_e32 v225, 16, v225
	v_and_b32_e32 v226, 0x1000, v226
	s_nop 0
	v_cvt_f32_i32_e32 v227, v224
	v_mov_b32_e32 v224, 0
	v_dot4c_i32_i8_e32 v224, v206, v35
	s_nop 2
	v_cvt_f32_i32_e32 v228, v224
	v_or3_b32 v224, v31, v225, v226
	v_mov_b32_e32 v226, 0
	v_fma_f32 v31, v0, v227, -v222
	v_dot4c_i32_i8_e32 v226, v30, v36
	v_mov_b32_e32 v227, 0
	v_dot4c_i32_i8_e32 v227, v28, v37
	v_fma_mix_f32 v31, v31, v22, 0 op_sel_hi:[0,1,0]
	v_cvt_f32_i32_e32 v226, v226
	v_fma_f32 v225, v0, v228, -v222
	v_cvt_f32_i32_e32 v227, v227
	v_fma_mix_f32 v31, v225, v22, v31 op_sel_hi:[0,1,0]
	v_fma_f32 v225, v2, v226, -v3
	v_mov_b32_e32 v226, 0
	v_fma_mix_f32 v31, v225, v23, v31 op_sel_hi:[0,1,0]
	v_fma_f32 v225, v2, v227, -v3
	v_dot4c_i32_i8_e32 v226, v26, v38
	v_mov_b32_e32 v227, 0
	v_dot4c_i32_i8_e32 v227, v27, v39
	v_fma_mix_f32 v31, v225, v23, v31 op_sel_hi:[0,1,0]
	v_cvt_f32_i32_e32 v226, v226
	v_fma_f32 v225, v4, v226, -v5
	v_cvt_f32_i32_e32 v227, v227
	v_mov_b32_e32 v226, 0
	v_fma_mix_f32 v31, v225, v24, v31 op_sel_hi:[0,1,0]
	v_dot4c_i32_i8_e32 v226, v29, v40
	v_fma_f32 v225, v4, v227, -v5
	v_mov_b32_e32 v227, 0
	v_dot4c_i32_i8_e32 v227, v224, v41
	v_cvt_f32_i32_e32 v226, v226
	v_fma_mix_f32 v31, v225, v24, v31 op_sel_hi:[0,1,0]
	v_fma_f32 v225, v6, v226, -v7
	v_cvt_f32_i32_e32 v227, v227
	v_fma_mix_f32 v31, v225, v25, v31 op_sel_hi:[0,1,0]
	v_fma_f32 v225, v6, v227, -v7
	v_fma_mix_f32 v31, v225, v25, v31 op_sel_hi:[0,1,0]
	ds_bpermute_b32 v225, v216, v31
	s_waitcnt lgkmcnt(0)
	v_add_f32_e32 v31, v31, v225
	ds_bpermute_b32 v225, v217, v31
	s_waitcnt lgkmcnt(0)
	v_add_f32_e32 v31, v31, v225
	s_cbranch_vccnz .LBB19_32
; %bb.31:                               ;   in Loop: Header=BB19_18 Depth=1
	v_mov_b32_e32 v225, s51
	v_add_co_u32_e32 v226, vcc, s47, v202
	v_addc_co_u32_e32 v227, vcc, v1, v225, vcc
	global_load_ushort v225, v[226:227], off offset:6
	s_waitcnt vmcnt(0)
	v_fma_mix_f32 v31, v214, v225, v31 op_sel_hi:[0,1,0]
.LBB19_32:                              ;   in Loop: Header=BB19_18 Depth=1
	v_mov_b32_e32 v225, 0
	v_dot4c_i32_i8_e32 v225, v207, v42
	v_cvt_f32_f16_e32 v22, v22
	v_cvt_f32_f16_e32 v23, v23
	;; [unrolled: 1-line block ×3, first 2 shown]
	v_cvt_f32_i32_e32 v207, v225
	v_mov_b32_e32 v225, 0
	v_dot4c_i32_i8_e32 v225, v206, v43
	v_cvt_f32_f16_e32 v25, v25
	v_fma_f32 v207, v8, v207, -v9
	v_fma_f32 v207, v207, v22, 0
	v_cvt_f32_i32_e32 v206, v225
	v_mov_b32_e32 v225, 0
	v_dot4c_i32_i8_e32 v225, v30, v44
	s_and_b64 vcc, exec, s[12:13]
	v_fma_f32 v206, v8, v206, -v9
	v_fmac_f32_e32 v207, v206, v22
	v_cvt_f32_i32_e32 v30, v225
	v_mov_b32_e32 v225, 0
	v_dot4c_i32_i8_e32 v225, v28, v45
	v_fma_f32 v22, v10, v30, -v11
	v_fmac_f32_e32 v207, v22, v23
	s_nop 0
	v_cvt_f32_i32_e32 v28, v225
	v_fma_f32 v22, v10, v28, -v11
	v_mov_b32_e32 v28, 0
	v_dot4c_i32_i8_e32 v28, v26, v46
	v_fmac_f32_e32 v207, v22, v23
	v_mov_b32_e32 v23, 0
	v_dot4c_i32_i8_e32 v23, v29, v48
	v_cvt_f32_i32_e32 v26, v28
	v_mov_b32_e32 v28, 0
	v_dot4c_i32_i8_e32 v28, v27, v47
	v_cvt_f32_i32_e32 v23, v23
	v_fma_f32 v22, v12, v26, -v13
	v_mov_b32_e32 v26, 0
	v_cvt_f32_i32_e32 v27, v28
	v_dot4c_i32_i8_e32 v26, v224, v49
	v_fmac_f32_e32 v207, v22, v24
	v_fma_f32 v22, v12, v27, -v13
	s_nop 0
	v_cvt_f32_i32_e32 v26, v26
	v_fmac_f32_e32 v207, v22, v24
	v_fma_f32 v22, v14, v23, -v15
	v_fmac_f32_e32 v207, v22, v25
	v_fma_f32 v22, v14, v26, -v15
	v_fmac_f32_e32 v207, v22, v25
	ds_bpermute_b32 v22, v216, v207
	s_waitcnt lgkmcnt(0)
	v_add_f32_e32 v22, v207, v22
	ds_bpermute_b32 v23, v217, v22
	s_waitcnt lgkmcnt(0)
	v_add_f32_e32 v22, v22, v23
	s_cbranch_vccnz .LBB19_17
; %bb.33:                               ;   in Loop: Header=BB19_18 Depth=1
	v_mov_b32_e32 v23, s51
	v_add_co_u32_e32 v24, vcc, s47, v52
	v_addc_co_u32_e32 v25, vcc, v53, v23, vcc
	global_load_ushort v23, v[24:25], off offset:6
	s_waitcnt vmcnt(0)
	v_fma_mix_f32 v22, v214, v23, v22 op_sel_hi:[0,1,0]
	s_branch .LBB19_17
.LBB19_34:
	s_cmp_eq_u64 s[24:25], 0
	s_cselect_b64 s[2:3], -1, 0
	s_cmp_lg_u32 s9, 0
	s_cselect_b64 s[4:5], -1, 0
	s_or_b64 s[2:3], s[4:5], s[2:3]
	s_or_b64 s[0:1], s[0:1], s[2:3]
	s_xor_b64 s[0:1], s[0:1], -1
	s_and_saveexec_b64 s[2:3], s[0:1]
	s_cbranch_execz .LBB19_36
; %bb.35:
	s_ashr_i32 s37, s36, 31
	s_lshl_b64 s[0:1], s[36:37], 2
	s_add_u32 s0, s24, s0
	s_addc_u32 s1, s25, s1
	s_load_dword s4, s[0:1], 0x0
	v_cmp_eq_u32_e32 vcc, 1, v208
	v_cndmask_b32_e32 v0, v56, v57, vcc
	v_max_f32_e32 v1, v0, v0
	s_mov_b32 s5, 0x3fb8aa3b
	s_waitcnt lgkmcnt(0)
	v_max_f32_e64 v2, s4, s4
	v_max_f32_e32 v2, v2, v1
	v_sub_f32_e32 v0, v0, v2
	v_mul_f32_e32 v1, 0x3fb8aa3b, v0
	v_fma_f32 v3, v0, s5, -v1
	v_rndne_f32_e32 v4, v1
	v_fmac_f32_e32 v3, 0x32a5705f, v0
	v_sub_f32_e32 v1, v1, v4
	v_add_f32_e32 v1, v1, v3
	v_cvt_i32_f32_e32 v3, v4
	v_sub_f32_e32 v4, s4, v2
	v_mul_f32_e32 v5, 0x3fb8aa3b, v4
	v_fma_f32 v6, v4, s5, -v5
	v_rndne_f32_e32 v7, v5
	v_exp_f32_e32 v1, v1
	v_fmac_f32_e32 v6, 0x32a5705f, v4
	v_sub_f32_e32 v5, v5, v7
	v_add_f32_e32 v5, v5, v6
	v_exp_f32_e32 v5, v5
	v_cvt_i32_f32_e32 v6, v7
	s_mov_b32 s8, 0xc2ce8ed0
	v_ldexp_f32 v1, v1, v3
	v_cmp_ngt_f32_e64 s[0:1], s8, v0
	s_mov_b32 s10, 0x42b17218
	v_cndmask_b32_e64 v1, 0, v1, s[0:1]
	v_mov_b32_e32 v3, 0x7f800000
	v_cmp_nlt_f32_e64 s[0:1], s10, v0
	v_cndmask_b32_e64 v7, v3, v1, s[0:1]
	v_ldexp_f32 v0, v5, v6
	v_cmp_ngt_f32_e64 s[0:1], s8, v4
	v_cndmask_b32_e64 v0, 0, v0, s[0:1]
	v_cmp_nlt_f32_e64 s[0:1], s10, v4
	v_lshl_add_u32 v4, v208, 3, v212
	v_cndmask_b32_e64 v3, v3, v0, s[0:1]
	ds_read_b64 v[0:1], v4
	v_cvt_f16_f32_e32 v5, v7
	v_cmp_eq_u32_e64 s[0:1], 0, v203
	v_cndmask_b32_e32 v8, v54, v55, vcc
	v_cndmask_b32_e64 v3, 0, v3, s[0:1]
	v_fmac_f32_e32 v3, v8, v7
	v_cmp_eq_u32_e64 s[0:1], 0, v208
	s_waitcnt lgkmcnt(0)
	v_pk_mul_f16 v0, v5, v0 op_sel_hi:[0,1]
	v_pk_mul_f16 v1, v5, v1 op_sel_hi:[0,1]
	v_cndmask_b32_e32 v57, v57, v2, vcc
	v_cndmask_b32_e64 v56, v56, v2, s[0:1]
	v_cndmask_b32_e32 v55, v55, v3, vcc
	v_cndmask_b32_e64 v54, v54, v3, s[0:1]
	ds_write_b64 v4, v[0:1]
.LBB19_36:
	s_or_b64 exec, exec, s[2:3]
	v_cmp_eq_u32_e32 vcc, 0, v208
	s_and_saveexec_b64 s[0:1], vcc
	s_cbranch_execz .LBB19_38
; %bb.37:
	v_mov_b32_e32 v0, 0xfeffffff
	v_add_u32_e32 v2, 0x400, v213
	v_mov_b32_e32 v1, 0
	ds_write2_b32 v2, v0, v0 offset1:32
	ds_write2_b32 v2, v1, v1 offset0:64 offset1:96
.LBB19_38:
	s_or_b64 exec, exec, s[0:1]
	v_cmp_eq_u32_e64 s[0:1], 0, v203
	s_waitcnt lgkmcnt(0)
	s_barrier
	s_and_saveexec_b64 s[2:3], s[0:1]
	s_cbranch_execz .LBB19_40
; %bb.39:
	v_lshlrev_b32_e32 v0, 2, v208
	v_add_u32_e32 v0, 0x400, v0
	ds_write2_b32 v0, v56, v57 offset1:32
.LBB19_40:
	s_or_b64 exec, exec, s[2:3]
	s_cmp_lt_i32 s33, s34
	s_waitcnt lgkmcnt(0)
	s_barrier
	s_cbranch_scc1 .LBB19_42
; %bb.41:
	s_load_dword s10, s[6:7], 0xd4
	s_mul_i32 s8, s50, s34
	s_cbranch_execz .LBB19_43
	s_branch .LBB19_51
.LBB19_42:
                                        ; implicit-def: $sgpr10
	s_mul_i32 s8, s50, s34
.LBB19_43:
	v_mbcnt_hi_u32_b32 v0, -1, v215
	v_and_b32_e32 v1, 0x60, v0
	ds_read_b32 v2, v213 offset:1024
	v_add_u32_e32 v1, 32, v1
	v_xor_b32_e32 v3, 16, v0
	v_cmp_lt_i32_e32 vcc, v3, v1
	v_cndmask_b32_e32 v3, v0, v3, vcc
	v_lshlrev_b32_e32 v4, 2, v3
	s_waitcnt lgkmcnt(0)
	ds_bpermute_b32 v3, v4, v2
	v_xor_b32_e32 v5, 8, v0
	v_cmp_lt_i32_e32 vcc, v5, v1
	v_cndmask_b32_e32 v5, v0, v5, vcc
	v_max_f32_e32 v2, v2, v2
	s_waitcnt lgkmcnt(0)
	v_max_f32_e32 v3, v3, v3
	v_lshlrev_b32_e32 v6, 2, v5
	v_max_f32_e32 v2, v2, v3
	ds_bpermute_b32 v3, v6, v2
	v_xor_b32_e32 v5, 4, v0
	v_cmp_lt_i32_e32 vcc, v5, v1
	v_cndmask_b32_e32 v5, v0, v5, vcc
	v_lshlrev_b32_e32 v5, 2, v5
	s_waitcnt lgkmcnt(0)
	v_max_f32_e32 v3, v3, v3
	v_max_f32_e32 v2, v2, v3
	ds_bpermute_b32 v3, v5, v2
	v_xor_b32_e32 v7, 2, v0
	v_cmp_lt_i32_e32 vcc, v7, v1
	v_cndmask_b32_e32 v7, v0, v7, vcc
	v_lshlrev_b32_e32 v8, 2, v7
	s_waitcnt lgkmcnt(0)
	v_max_f32_e32 v3, v3, v3
	;; [unrolled: 8-line block ×3, first 2 shown]
	v_max_f32_e32 v0, v2, v0
	ds_bpermute_b32 v1, v7, v0
	s_mov_b32 s2, 0x3fb8aa3b
	ds_read_b64 v[10:11], v212
	s_load_dword s10, s[6:7], 0xd4
	s_waitcnt lgkmcnt(0)
	v_max_f32_e32 v1, v1, v1
	v_max_f32_e32 v0, v0, v1
	v_sub_f32_e32 v1, v56, v0
	v_mul_f32_e32 v2, 0x3fb8aa3b, v1
	v_fma_f32 v3, v1, s2, -v2
	v_rndne_f32_e32 v9, v2
	v_fmac_f32_e32 v3, 0x32a5705f, v1
	v_sub_f32_e32 v2, v2, v9
	v_add_f32_e32 v2, v2, v3
	v_exp_f32_e32 v2, v2
	v_cvt_i32_f32_e32 v3, v9
	s_mov_b32 s2, 0xc2ce8ed0
	v_cmp_ngt_f32_e32 vcc, s2, v1
	s_mov_b32 s2, 0x42b17218
	v_ldexp_f32 v2, v2, v3
	v_cndmask_b32_e32 v2, 0, v2, vcc
	v_mov_b32_e32 v3, 0x7f800000
	v_cmp_nlt_f32_e32 vcc, s2, v1
	v_cndmask_b32_e32 v1, v3, v2, vcc
	v_mul_f32_e32 v2, v54, v1
	ds_bpermute_b32 v2, v4, v2
	v_cvt_f16_f32_e32 v12, v1
	v_lshlrev_b32_e32 v9, 3, v203
	v_add_u32_e32 v9, v209, v9
	s_waitcnt lgkmcnt(0)
	v_fmac_f32_e32 v2, v54, v1
	ds_bpermute_b32 v3, v6, v2
	v_pk_mul_f16 v10, v12, v10 op_sel_hi:[0,1]
	v_pk_mul_f16 v11, v12, v11 op_sel_hi:[0,1]
	ds_write_b64 v212, v[10:11]
	ds_write_b64 v9, v[10:11]
	s_waitcnt lgkmcnt(2)
	v_add_f32_e32 v2, v2, v3
	ds_bpermute_b32 v3, v5, v2
	s_waitcnt lgkmcnt(0)
	v_add_f32_e32 v2, v2, v3
	ds_bpermute_b32 v3, v8, v2
	;; [unrolled: 3-line block ×3, first 2 shown]
	s_and_saveexec_b64 s[2:3], s[0:1]
	s_cbranch_execz .LBB19_45
; %bb.44:
	s_waitcnt lgkmcnt(0)
	v_add_f32_e32 v1, v1, v2
	v_lshlrev_b32_e32 v2, 2, v208
	ds_write_b32 v2, v1 offset:1280
.LBB19_45:
	s_or_b64 exec, exec, s[2:3]
	s_waitcnt lgkmcnt(0)
	s_barrier
	ds_read_b32 v1, v213 offset:1280
	ds_read_u16 v2, v211
	ds_read_u16 v12, v211 offset:256
	ds_read_u16 v14, v211 offset:512
	;; [unrolled: 1-line block ×3, first 2 shown]
	s_waitcnt lgkmcnt(4)
	ds_bpermute_b32 v3, v4, v1
	s_waitcnt lgkmcnt(4)
	v_cvt_f32_f16_e32 v2, v2
	v_mov_b32_e32 v10, 0
	s_waitcnt lgkmcnt(3)
	v_cvt_f32_f16_e32 v12, v12
	s_cmp_eq_u32 s10, 1
	s_waitcnt lgkmcnt(0)
	v_add_f32_e32 v3, v1, v3
	ds_bpermute_b32 v11, v6, v3
	s_waitcnt lgkmcnt(0)
	v_pk_add_f32 v[2:3], v[2:3], v[10:11]
	ds_bpermute_b32 v13, v5, v3
	v_mov_b32_e32 v11, v10
	s_waitcnt lgkmcnt(0)
	v_pk_add_f32 v[2:3], v[2:3], v[12:13]
	ds_bpermute_b32 v13, v8, v3
	v_cvt_f32_f16_e32 v12, v14
	v_mov_b32_e32 v14, s29
	s_waitcnt lgkmcnt(0)
	v_pk_add_f32 v[2:3], v[2:3], v[12:13]
	ds_bpermute_b32 v13, v7, v3
	v_cvt_f32_f16_e32 v12, v15
	s_waitcnt lgkmcnt(0)
	v_pk_add_f32 v[2:3], v[2:3], v[12:13]
	v_div_scale_f32 v12, s[2:3], v3, v3, v2
	v_rcp_f32_e32 v13, v12
	v_div_scale_f32 v10, vcc, v2, v3, v2
	s_cselect_b64 s[2:3], -1, 0
	v_fma_f32 v15, -v12, v13, 1.0
	v_fmac_f32_e32 v13, v15, v13
	v_mul_f32_e32 v15, v10, v13
	v_fma_f32 v16, -v12, v15, v10
	s_add_i32 s4, s8, s33
	v_fmac_f32_e32 v15, v16, v13
	s_mul_i32 s6, s4, s35
	v_fma_f32 v10, -v12, v15, v10
	s_add_i32 s6, s6, s36
	v_div_fmas_f32 v10, v10, v13, v15
	s_mul_i32 s4, s10, s6
	v_div_fixup_f32 v10, v10, v3, v2
	s_add_i32 s4, s4, s9
	v_cndmask_b32_e64 v2, v2, v10, s[2:3]
	v_lshl_or_b32 v10, s4, 7, v210
	v_lshlrev_b64 v[10:11], 2, v[10:11]
	v_add_co_u32_e32 v10, vcc, s28, v10
	s_or_b32 s4, s33, 1
	v_addc_co_u32_e32 v11, vcc, v14, v11, vcc
	s_cmp_ge_i32 s4, s34
	global_store_dword v[10:11], v2, off
	s_barrier
	s_cbranch_scc1 .LBB19_49
; %bb.46:
	v_or_b32_e32 v1, 0x400, v213
	ds_read_b32 v1, v1 offset:128
	s_mov_b32 s4, 0x3fb8aa3b
	s_mov_b32 s5, 0x42b17218
	s_waitcnt lgkmcnt(0)
	ds_bpermute_b32 v2, v4, v1
	v_max_f32_e32 v1, v1, v1
	s_waitcnt lgkmcnt(0)
	v_max_f32_e32 v2, v2, v2
	v_max_f32_e32 v1, v1, v2
	ds_bpermute_b32 v2, v6, v1
	s_waitcnt lgkmcnt(0)
	v_max_f32_e32 v2, v2, v2
	v_max_f32_e32 v1, v1, v2
	ds_bpermute_b32 v2, v5, v1
	;; [unrolled: 4-line block ×4, first 2 shown]
	s_waitcnt lgkmcnt(0)
	v_max_f32_e32 v2, v2, v2
	v_max_f32_e32 v1, v1, v2
	v_sub_f32_e32 v2, v57, v1
	v_mul_f32_e32 v10, 0x3fb8aa3b, v2
	v_fma_f32 v11, v2, s4, -v10
	v_rndne_f32_e32 v12, v10
	v_fmac_f32_e32 v11, 0x32a5705f, v2
	v_sub_f32_e32 v10, v10, v12
	v_add_f32_e32 v10, v10, v11
	v_cvt_i32_f32_e32 v12, v12
	v_exp_f32_e32 v10, v10
	s_mov_b32 s4, 0xc2ce8ed0
	v_cmp_ngt_f32_e32 vcc, s4, v2
	v_mov_b32_e32 v11, 0x7f800000
	v_ldexp_f32 v10, v10, v12
	v_cndmask_b32_e32 v10, 0, v10, vcc
	v_cmp_nlt_f32_e32 vcc, s5, v2
	v_cndmask_b32_e32 v2, v11, v10, vcc
	v_mul_f32_e32 v10, v55, v2
	ds_bpermute_b32 v10, v4, v10
	ds_read_b64 v[12:13], v212 offset:8
	v_cvt_f16_f32_e32 v15, v2
	s_waitcnt lgkmcnt(1)
	v_fmac_f32_e32 v10, v55, v2
	ds_bpermute_b32 v11, v6, v10
	v_mov_b32_e32 v2, v3
	s_waitcnt lgkmcnt(1)
	v_pk_mul_f16 v12, v15, v12 op_sel_hi:[0,1]
	v_pk_mul_f16 v13, v15, v13 op_sel_hi:[0,1]
	ds_write_b64 v212, v[12:13] offset:8
	ds_write_b64 v9, v[12:13]
	s_waitcnt lgkmcnt(2)
	v_add_f32_e32 v10, v10, v11
	ds_bpermute_b32 v11, v5, v10
	s_waitcnt lgkmcnt(0)
	v_add_f32_e32 v11, v10, v11
	ds_bpermute_b32 v14, v8, v11
	v_add_u32_e32 v10, 0x500, v213
	s_waitcnt lgkmcnt(0)
	v_add_f32_e32 v3, v11, v14
	ds_bpermute_b32 v11, v7, v3
	s_and_saveexec_b64 s[4:5], s[0:1]
	s_cbranch_execz .LBB19_48
; %bb.47:
	v_lshlrev_b32_e32 v9, 2, v208
	s_waitcnt lgkmcnt(0)
	v_add_f32_e32 v3, v3, v11
	ds_write_b32 v9, v3 offset:1408
.LBB19_48:
	s_or_b64 exec, exec, s[4:5]
	s_waitcnt lgkmcnt(0)
	s_barrier
	ds_read_b32 v3, v10 offset:128
	ds_read_u16 v9, v211
	ds_read_u16 v14, v211 offset:256
	ds_read_u16 v15, v211 offset:512
	;; [unrolled: 1-line block ×3, first 2 shown]
	s_waitcnt lgkmcnt(4)
	ds_bpermute_b32 v4, v4, v3
	s_waitcnt lgkmcnt(4)
	v_cvt_f32_f16_e32 v10, v9
	v_mov_b32_e32 v9, 0
	v_mov_b32_e32 v12, v9
	s_add_i32 s6, s6, s35
	s_waitcnt lgkmcnt(0)
	v_add_f32_e32 v11, v3, v4
	ds_bpermute_b32 v13, v6, v11
	v_cvt_f32_f16_e32 v4, v14
	v_cvt_f32_f16_e32 v6, v16
	s_mul_i32 s0, s10, s6
	s_add_i32 s0, s0, s9
	s_waitcnt lgkmcnt(0)
	v_pk_add_f32 v[10:11], v[10:11], v[12:13]
	ds_bpermute_b32 v5, v5, v11
	v_mov_b32_e32 v3, s29
	s_waitcnt lgkmcnt(0)
	v_pk_add_f32 v[4:5], v[10:11], v[4:5]
	ds_bpermute_b32 v11, v8, v5
	v_cvt_f32_f16_e32 v10, v15
	v_lshl_or_b32 v8, s0, 7, v210
	v_lshlrev_b64 v[8:9], 2, v[8:9]
	s_waitcnt lgkmcnt(0)
	v_pk_add_f32 v[4:5], v[4:5], v[10:11]
	ds_bpermute_b32 v7, v7, v5
	s_waitcnt lgkmcnt(0)
	v_pk_add_f32 v[54:55], v[4:5], v[6:7]
	v_div_scale_f32 v6, s[0:1], v55, v55, v54
	v_rcp_f32_e32 v7, v6
	v_add_co_u32_e32 v4, vcc, s28, v8
	v_addc_co_u32_e32 v5, vcc, v3, v9, vcc
	v_fma_f32 v8, -v6, v7, 1.0
	v_div_scale_f32 v3, vcc, v54, v55, v54
	v_fmac_f32_e32 v7, v8, v7
	v_mul_f32_e32 v8, v3, v7
	v_fma_f32 v9, -v6, v8, v3
	v_fmac_f32_e32 v8, v9, v7
	v_fma_f32 v3, -v6, v8, v3
	v_div_fmas_f32 v3, v3, v7, v8
	v_div_fixup_f32 v3, v3, v55, v54
	v_cndmask_b32_e64 v3, v54, v3, s[2:3]
	global_store_dword v[4:5], v3, off
	v_mov_b32_e32 v3, v2
	s_branch .LBB19_50
.LBB19_49:
	v_mov_b32_e32 v1, v57
.LBB19_50:
	v_mov_b32_e32 v54, v3
	v_pk_mov_b32 v[56:57], v[0:1], v[0:1] op_sel:[0,1]
.LBB19_51:
	s_waitcnt lgkmcnt(0)
	s_cmp_lg_u32 s10, 1
	s_cselect_b64 s[0:1], -1, 0
	v_cmp_gt_u32_e32 vcc, 2, v210
	v_or_b32_e32 v0, s33, v203
	s_and_b64 s[0:1], vcc, s[0:1]
	v_cmp_gt_i32_e32 vcc, s34, v0
	s_and_b64 s[0:1], s[0:1], vcc
	s_and_saveexec_b64 s[2:3], s[0:1]
	s_cbranch_execz .LBB19_53
; %bb.52:
	v_add_u32_e32 v0, s8, v0
	v_mul_lo_u32 v0, v0, s35
	v_add_u32_e32 v0, s36, v0
	v_mul_lo_u32 v0, s10, v0
	v_add_u32_e32 v0, s9, v0
	v_mov_b32_e32 v1, 0
	v_cmp_eq_u32_e32 vcc, 1, v210
	v_lshlrev_b64 v[0:1], 3, v[0:1]
	v_cndmask_b32_e32 v2, v56, v57, vcc
	v_cndmask_b32_e32 v3, v54, v55, vcc
	v_mov_b32_e32 v4, s31
	v_add_co_u32_e32 v0, vcc, s30, v0
	v_addc_co_u32_e32 v1, vcc, v4, v1, vcc
	global_store_dwordx2 v[0:1], v[2:3], off
.LBB19_53:
	s_endpgm
	.section	.rodata,"a",@progbits
	.p2align	6, 0x0
	.amdhsa_kernel _ZL18flash_attn_ext_vecILi128ELi2EL9ggml_type6ELS0_8ELb0EEvPKcS2_S2_S2_S2_PKiPfP15HIP_vector_typeIfLj2EEffffjfiS6_IjLj3EEiiiiiiiiiiiliiliiiiil
		.amdhsa_group_segment_fixed_size 3584
		.amdhsa_private_segment_fixed_size 0
		.amdhsa_kernarg_size 464
		.amdhsa_user_sgpr_count 8
		.amdhsa_user_sgpr_private_segment_buffer 1
		.amdhsa_user_sgpr_dispatch_ptr 1
		.amdhsa_user_sgpr_queue_ptr 0
		.amdhsa_user_sgpr_kernarg_segment_ptr 1
		.amdhsa_user_sgpr_dispatch_id 0
		.amdhsa_user_sgpr_flat_scratch_init 0
		.amdhsa_user_sgpr_kernarg_preload_length 0
		.amdhsa_user_sgpr_kernarg_preload_offset 0
		.amdhsa_user_sgpr_private_segment_size 0
		.amdhsa_uses_dynamic_stack 0
		.amdhsa_system_sgpr_private_segment_wavefront_offset 0
		.amdhsa_system_sgpr_workgroup_id_x 1
		.amdhsa_system_sgpr_workgroup_id_y 1
		.amdhsa_system_sgpr_workgroup_id_z 1
		.amdhsa_system_sgpr_workgroup_info 0
		.amdhsa_system_vgpr_workitem_id 2
		.amdhsa_next_free_vgpr 245
		.amdhsa_next_free_sgpr 67
		.amdhsa_accum_offset 248
		.amdhsa_reserve_vcc 1
		.amdhsa_reserve_flat_scratch 0
		.amdhsa_float_round_mode_32 0
		.amdhsa_float_round_mode_16_64 0
		.amdhsa_float_denorm_mode_32 3
		.amdhsa_float_denorm_mode_16_64 3
		.amdhsa_dx10_clamp 1
		.amdhsa_ieee_mode 1
		.amdhsa_fp16_overflow 0
		.amdhsa_tg_split 0
		.amdhsa_exception_fp_ieee_invalid_op 0
		.amdhsa_exception_fp_denorm_src 0
		.amdhsa_exception_fp_ieee_div_zero 0
		.amdhsa_exception_fp_ieee_overflow 0
		.amdhsa_exception_fp_ieee_underflow 0
		.amdhsa_exception_fp_ieee_inexact 0
		.amdhsa_exception_int_div_zero 0
	.end_amdhsa_kernel
	.section	.text._ZL18flash_attn_ext_vecILi128ELi2EL9ggml_type6ELS0_8ELb0EEvPKcS2_S2_S2_S2_PKiPfP15HIP_vector_typeIfLj2EEffffjfiS6_IjLj3EEiiiiiiiiiiiliiliiiiil,"axG",@progbits,_ZL18flash_attn_ext_vecILi128ELi2EL9ggml_type6ELS0_8ELb0EEvPKcS2_S2_S2_S2_PKiPfP15HIP_vector_typeIfLj2EEffffjfiS6_IjLj3EEiiiiiiiiiiiliiliiiiil,comdat
.Lfunc_end19:
	.size	_ZL18flash_attn_ext_vecILi128ELi2EL9ggml_type6ELS0_8ELb0EEvPKcS2_S2_S2_S2_PKiPfP15HIP_vector_typeIfLj2EEffffjfiS6_IjLj3EEiiiiiiiiiiiliiliiiiil, .Lfunc_end19-_ZL18flash_attn_ext_vecILi128ELi2EL9ggml_type6ELS0_8ELb0EEvPKcS2_S2_S2_S2_PKiPfP15HIP_vector_typeIfLj2EEffffjfiS6_IjLj3EEiiiiiiiiiiiliiliiiiil
                                        ; -- End function
	.section	.AMDGPU.csdata,"",@progbits
; Kernel info:
; codeLenInByte = 18944
; NumSgprs: 71
; NumVgprs: 245
; NumAgprs: 0
; TotalNumVgprs: 245
; ScratchSize: 0
; MemoryBound: 0
; FloatMode: 240
; IeeeMode: 1
; LDSByteSize: 3584 bytes/workgroup (compile time only)
; SGPRBlocks: 8
; VGPRBlocks: 30
; NumSGPRsForWavesPerEU: 71
; NumVGPRsForWavesPerEU: 245
; AccumOffset: 248
; Occupancy: 2
; WaveLimiterHint : 0
; COMPUTE_PGM_RSRC2:SCRATCH_EN: 0
; COMPUTE_PGM_RSRC2:USER_SGPR: 8
; COMPUTE_PGM_RSRC2:TRAP_HANDLER: 0
; COMPUTE_PGM_RSRC2:TGID_X_EN: 1
; COMPUTE_PGM_RSRC2:TGID_Y_EN: 1
; COMPUTE_PGM_RSRC2:TGID_Z_EN: 1
; COMPUTE_PGM_RSRC2:TIDIG_COMP_CNT: 2
; COMPUTE_PGM_RSRC3_GFX90A:ACCUM_OFFSET: 61
; COMPUTE_PGM_RSRC3_GFX90A:TG_SPLIT: 0
	.section	.text._ZL33flash_attn_stream_k_fixup_uniformILi128ELi2ELi1EEvPfPK15HIP_vector_typeIfLj2EEiiiiiiS1_IjLj3EES5_S5_,"axG",@progbits,_ZL33flash_attn_stream_k_fixup_uniformILi128ELi2ELi1EEvPfPK15HIP_vector_typeIfLj2EEiiiiiiS1_IjLj3EES5_S5_,comdat
	.globl	_ZL33flash_attn_stream_k_fixup_uniformILi128ELi2ELi1EEvPfPK15HIP_vector_typeIfLj2EEiiiiiiS1_IjLj3EES5_S5_ ; -- Begin function _ZL33flash_attn_stream_k_fixup_uniformILi128ELi2ELi1EEvPfPK15HIP_vector_typeIfLj2EEiiiiiiS1_IjLj3EES5_S5_
	.p2align	8
	.type	_ZL33flash_attn_stream_k_fixup_uniformILi128ELi2ELi1EEvPfPK15HIP_vector_typeIfLj2EEiiiiiiS1_IjLj3EES5_S5_,@function
_ZL33flash_attn_stream_k_fixup_uniformILi128ELi2ELi1EEvPfPK15HIP_vector_typeIfLj2EEiiiiiiS1_IjLj3EES5_S5_: ; @_ZL33flash_attn_stream_k_fixup_uniformILi128ELi2ELi1EEvPfPK15HIP_vector_typeIfLj2EEiiiiiiS1_IjLj3EES5_S5_
; %bb.0:
	s_load_dwordx8 s[12:19], s[4:5], 0x1c
	s_load_dwordx2 s[10:11], s[4:5], 0x10
	s_load_dwordx4 s[0:3], s[4:5], 0x3c
	s_waitcnt lgkmcnt(0)
	s_mul_hi_u32 s9, s15, s6
	s_add_i32 s9, s6, s9
	s_lshr_b32 s9, s9, s16
	s_mul_i32 s15, s9, s17
	s_sub_i32 s15, s6, s15
	s_mul_hi_u32 s16, s15, s18
	s_add_i32 s16, s15, s16
	s_lshr_b32 s16, s16, s19
	s_mul_i32 s0, s16, s0
	s_sub_i32 s0, s15, s0
	;; [unrolled: 5-line block ×3, first 2 shown]
	s_lshl_b32 s0, s17, 1
	s_add_i32 s0, s0, s7
	s_cmp_lt_i32 s0, s10
	s_cselect_b64 s[0:1], -1, 0
	s_add_i32 s2, s15, s8
	s_cmp_lt_i32 s2, s13
	s_cselect_b64 s[2:3], -1, 0
	s_and_b64 s[0:1], s[0:1], s[2:3]
	s_andn2_b64 vcc, exec, s[0:1]
	s_cbranch_vccnz .LBB20_6
; %bb.1:
	s_load_dwordx4 s[0:3], s[4:5], 0x0
	s_mul_i32 s4, s9, s10
	s_add_i32 s4, s4, s7
	s_mul_i32 s4, s4, s11
	s_mul_i32 s16, s16, s13
	s_add_i32 s4, s4, s8
	s_add_i32 s4, s4, s16
	s_mul_i32 s5, s11, s17
	s_add_i32 s4, s4, s15
	s_lshl_b32 s5, s5, 8
	s_lshl_b32 s4, s4, 7
	s_add_i32 s5, s5, s4
	v_or_b32_e32 v2, s5, v0
	v_ashrrev_i32_e32 v3, 31, v2
	v_lshlrev_b64 v[2:3], 2, v[2:3]
	s_waitcnt lgkmcnt(0)
	v_mov_b32_e32 v1, s1
	v_add_co_u32_e32 v2, vcc, s0, v2
	v_addc_co_u32_e32 v3, vcc, v1, v3, vcc
	global_load_dword v8, v[2:3], off
	s_add_i32 s4, s7, s8
	s_mul_i32 s7, s6, s14
	s_add_i32 s5, s7, s14
	s_lshl_b32 s0, s5, 1
	s_add_i32 s0, s4, s0
	s_add_i32 s0, s0, -2
	s_ashr_i32 s1, s0, 31
	s_lshl_b64 s[0:1], s[0:1], 3
	s_add_u32 s0, s2, s0
	s_addc_u32 s1, s3, s1
	s_load_dword s10, s[0:1], 0x4
	s_add_i32 s8, s5, -2
	s_cmp_lt_i32 s8, s7
	s_cbranch_scc1 .LBB20_4
; %bb.2:
	s_lshl_b32 s8, s12, 3
	s_ashr_i32 s9, s8, 31
	s_lshl_b64 s[8:9], s[8:9], 2
	s_add_u32 s8, s2, s8
	s_addc_u32 s11, s3, s9
	s_add_i32 s6, s6, 1
	s_add_i32 s9, s5, -1
	s_mul_i32 s5, s14, s6
	s_load_dword s0, s[0:1], 0x0
	s_lshl_b32 s1, s4, 7
	s_lshl_b32 s6, s5, 8
	s_add_i32 s1, s1, s6
	v_or_b32_e32 v0, s1, v0
	s_lshl_b32 s1, s5, 1
	s_add_i32 s1, s4, s1
	s_lshl_b32 s4, s12, 1
	s_add_i32 s1, s1, s4
	v_add_u32_e32 v0, 0xfffffe00, v0
	s_add_i32 s4, s1, -4
	s_waitcnt lgkmcnt(0)
	v_mov_b32_e32 v7, s10
	v_mov_b32_e32 v6, s0
	;; [unrolled: 1-line block ×3, first 2 shown]
	s_mov_b32 s6, 0x3fb8aa3b
	s_mov_b32 s10, 0xc2ce8ed0
	;; [unrolled: 1-line block ×3, first 2 shown]
	v_mov_b32_e32 v5, 0x7f800000
	s_mov_b32 s12, 0xc1a00000
.LBB20_3:                               ; =>This Inner Loop Header: Depth=1
	v_ashrrev_i32_e32 v1, 31, v0
	v_lshlrev_b64 v[10:11], 2, v[0:1]
	v_add_co_u32_e32 v10, vcc, s8, v10
	v_addc_co_u32_e32 v11, vcc, v4, v11, vcc
	global_load_dword v1, v[10:11], off
	s_ashr_i32 s5, s4, 31
	s_lshl_b64 s[0:1], s[4:5], 3
	s_add_u32 s0, s2, s0
	s_addc_u32 s1, s3, s1
	s_load_dwordx2 s[14:15], s[0:1], 0x0
	s_waitcnt vmcnt(1)
	v_mov_b32_e32 v9, v8
	v_max_f32_e32 v8, v6, v6
	v_mov_b32_e32 v10, v7
	s_add_i32 s9, s9, -1
	s_waitcnt lgkmcnt(0)
	v_max_f32_e64 v7, s14, s14
	v_max_f32_e32 v7, v8, v7
	v_sub_f32_e32 v11, s14, v7
	v_sub_f32_e32 v8, v6, v7
	v_mul_f32_e32 v12, 0x3fb8aa3b, v11
	v_mov_b32_e32 v6, v7
	v_mul_f32_e32 v7, 0x3fb8aa3b, v8
	v_fma_f32 v15, v11, s6, -v12
	v_rndne_f32_e32 v16, v12
	v_fma_f32 v13, v8, s6, -v7
	v_rndne_f32_e32 v14, v7
	v_fmac_f32_e32 v15, 0x32a5705f, v11
	v_sub_f32_e32 v12, v12, v16
	v_fmac_f32_e32 v13, 0x32a5705f, v8
	v_sub_f32_e32 v7, v7, v14
	v_add_f32_e32 v12, v12, v15
	v_cvt_i32_f32_e32 v16, v16
	v_add_f32_e32 v7, v7, v13
	v_exp_f32_e32 v12, v12
	v_cvt_i32_f32_e32 v14, v14
	v_exp_f32_e32 v7, v7
	v_cmp_ngt_f32_e32 vcc, s10, v11
	v_ldexp_f32 v12, v12, v16
	v_cmp_ngt_f32_e64 s[0:1], s10, v8
	v_ldexp_f32 v7, v7, v14
	v_cndmask_b32_e32 v12, 0, v12, vcc
	v_cmp_nlt_f32_e32 vcc, s11, v11
	v_cndmask_b32_e64 v7, 0, v7, s[0:1]
	v_cmp_nlt_f32_e64 s[0:1], s11, v8
	v_cndmask_b32_e32 v12, v5, v12, vcc
	v_cmp_le_f32_e32 vcc, s12, v11
	v_cndmask_b32_e64 v7, v5, v7, s[0:1]
	v_cmp_le_f32_e64 s[0:1], s12, v8
	v_cndmask_b32_e32 v8, 0, v12, vcc
	s_add_i32 s4, s4, -2
	v_cndmask_b32_e64 v11, 0, v7, s[0:1]
	v_mul_f32_e32 v7, s15, v8
	v_add_u32_e32 v0, 0xffffff00, v0
	s_cmp_le_i32 s9, s7
	v_fmac_f32_e32 v7, v10, v11
	s_waitcnt vmcnt(0)
	v_mul_f32_e32 v8, v1, v8
	v_fmac_f32_e32 v8, v9, v11
	s_cbranch_scc0 .LBB20_3
	s_branch .LBB20_5
.LBB20_4:
	s_waitcnt lgkmcnt(0)
	v_mov_b32_e32 v7, s10
.LBB20_5:
	s_waitcnt vmcnt(0)
	v_div_scale_f32 v0, s[0:1], v7, v7, v8
	v_rcp_f32_e32 v1, v0
	v_div_scale_f32 v4, vcc, v8, v7, v8
	v_fma_f32 v5, -v0, v1, 1.0
	v_fmac_f32_e32 v1, v5, v1
	v_mul_f32_e32 v5, v4, v1
	v_fma_f32 v6, -v0, v5, v4
	v_fmac_f32_e32 v5, v6, v1
	v_fma_f32 v0, -v0, v5, v4
	v_div_fmas_f32 v0, v0, v1, v5
	v_div_fixup_f32 v0, v0, v7, v8
	global_store_dword v[2:3], v0, off
.LBB20_6:
	s_endpgm
	.section	.rodata,"a",@progbits
	.p2align	6, 0x0
	.amdhsa_kernel _ZL33flash_attn_stream_k_fixup_uniformILi128ELi2ELi1EEvPfPK15HIP_vector_typeIfLj2EEiiiiiiS1_IjLj3EES5_S5_
		.amdhsa_group_segment_fixed_size 0
		.amdhsa_private_segment_fixed_size 0
		.amdhsa_kernarg_size 76
		.amdhsa_user_sgpr_count 6
		.amdhsa_user_sgpr_private_segment_buffer 1
		.amdhsa_user_sgpr_dispatch_ptr 0
		.amdhsa_user_sgpr_queue_ptr 0
		.amdhsa_user_sgpr_kernarg_segment_ptr 1
		.amdhsa_user_sgpr_dispatch_id 0
		.amdhsa_user_sgpr_flat_scratch_init 0
		.amdhsa_user_sgpr_kernarg_preload_length 0
		.amdhsa_user_sgpr_kernarg_preload_offset 0
		.amdhsa_user_sgpr_private_segment_size 0
		.amdhsa_uses_dynamic_stack 0
		.amdhsa_system_sgpr_private_segment_wavefront_offset 0
		.amdhsa_system_sgpr_workgroup_id_x 1
		.amdhsa_system_sgpr_workgroup_id_y 1
		.amdhsa_system_sgpr_workgroup_id_z 1
		.amdhsa_system_sgpr_workgroup_info 0
		.amdhsa_system_vgpr_workitem_id 0
		.amdhsa_next_free_vgpr 17
		.amdhsa_next_free_sgpr 20
		.amdhsa_accum_offset 20
		.amdhsa_reserve_vcc 1
		.amdhsa_reserve_flat_scratch 0
		.amdhsa_float_round_mode_32 0
		.amdhsa_float_round_mode_16_64 0
		.amdhsa_float_denorm_mode_32 3
		.amdhsa_float_denorm_mode_16_64 3
		.amdhsa_dx10_clamp 1
		.amdhsa_ieee_mode 1
		.amdhsa_fp16_overflow 0
		.amdhsa_tg_split 0
		.amdhsa_exception_fp_ieee_invalid_op 0
		.amdhsa_exception_fp_denorm_src 0
		.amdhsa_exception_fp_ieee_div_zero 0
		.amdhsa_exception_fp_ieee_overflow 0
		.amdhsa_exception_fp_ieee_underflow 0
		.amdhsa_exception_fp_ieee_inexact 0
		.amdhsa_exception_int_div_zero 0
	.end_amdhsa_kernel
	.section	.text._ZL33flash_attn_stream_k_fixup_uniformILi128ELi2ELi1EEvPfPK15HIP_vector_typeIfLj2EEiiiiiiS1_IjLj3EES5_S5_,"axG",@progbits,_ZL33flash_attn_stream_k_fixup_uniformILi128ELi2ELi1EEvPfPK15HIP_vector_typeIfLj2EEiiiiiiS1_IjLj3EES5_S5_,comdat
.Lfunc_end20:
	.size	_ZL33flash_attn_stream_k_fixup_uniformILi128ELi2ELi1EEvPfPK15HIP_vector_typeIfLj2EEiiiiiiS1_IjLj3EES5_S5_, .Lfunc_end20-_ZL33flash_attn_stream_k_fixup_uniformILi128ELi2ELi1EEvPfPK15HIP_vector_typeIfLj2EEiiiiiiS1_IjLj3EES5_S5_
                                        ; -- End function
	.section	.AMDGPU.csdata,"",@progbits
; Kernel info:
; codeLenInByte = 836
; NumSgprs: 24
; NumVgprs: 17
; NumAgprs: 0
; TotalNumVgprs: 17
; ScratchSize: 0
; MemoryBound: 0
; FloatMode: 240
; IeeeMode: 1
; LDSByteSize: 0 bytes/workgroup (compile time only)
; SGPRBlocks: 2
; VGPRBlocks: 2
; NumSGPRsForWavesPerEU: 24
; NumVGPRsForWavesPerEU: 17
; AccumOffset: 20
; Occupancy: 8
; WaveLimiterHint : 0
; COMPUTE_PGM_RSRC2:SCRATCH_EN: 0
; COMPUTE_PGM_RSRC2:USER_SGPR: 6
; COMPUTE_PGM_RSRC2:TRAP_HANDLER: 0
; COMPUTE_PGM_RSRC2:TGID_X_EN: 1
; COMPUTE_PGM_RSRC2:TGID_Y_EN: 1
; COMPUTE_PGM_RSRC2:TGID_Z_EN: 1
; COMPUTE_PGM_RSRC2:TIDIG_COMP_CNT: 0
; COMPUTE_PGM_RSRC3_GFX90A:ACCUM_OFFSET: 4
; COMPUTE_PGM_RSRC3_GFX90A:TG_SPLIT: 0
	.section	.text._ZL33flash_attn_stream_k_fixup_generalILi128ELi2ELi1EEvPfPK15HIP_vector_typeIfLj2EEiiiiS1_IjLj3EES5_S5_S5_,"axG",@progbits,_ZL33flash_attn_stream_k_fixup_generalILi128ELi2ELi1EEvPfPK15HIP_vector_typeIfLj2EEiiiiS1_IjLj3EES5_S5_S5_,comdat
	.globl	_ZL33flash_attn_stream_k_fixup_generalILi128ELi2ELi1EEvPfPK15HIP_vector_typeIfLj2EEiiiiS1_IjLj3EES5_S5_S5_ ; -- Begin function _ZL33flash_attn_stream_k_fixup_generalILi128ELi2ELi1EEvPfPK15HIP_vector_typeIfLj2EEiiiiS1_IjLj3EES5_S5_S5_
	.p2align	8
	.type	_ZL33flash_attn_stream_k_fixup_generalILi128ELi2ELi1EEvPfPK15HIP_vector_typeIfLj2EEiiiiS1_IjLj3EES5_S5_S5_,@function
_ZL33flash_attn_stream_k_fixup_generalILi128ELi2ELi1EEvPfPK15HIP_vector_typeIfLj2EEiiiiS1_IjLj3EES5_S5_S5_: ; @_ZL33flash_attn_stream_k_fixup_generalILi128ELi2ELi1EEvPfPK15HIP_vector_typeIfLj2EEiiiiS1_IjLj3EES5_S5_S5_
; %bb.0:
	s_load_dwordx4 s[12:15], s[4:5], 0x10
	s_load_dword s9, s[4:5], 0x50
	s_mov_b32 s2, 0
	s_waitcnt lgkmcnt(0)
	s_mul_hi_i32 s3, s15, s6
	s_cmp_lg_u64 s[2:3], 0
	s_mul_i32 s2, s15, s6
	s_cbranch_scc0 .LBB21_21
; %bb.1:
	v_cvt_f32_u32_e32 v1, s9
	v_cvt_f32_ubyte0_e32 v2, 0
	s_sub_u32 s10, 0, s9
	s_subb_u32 s11, 0, 0
	v_madmk_f32 v1, v2, 0x4f800000, v1
	v_rcp_f32_e32 v1, v1
	v_mul_f32_e32 v1, 0x5f7ffffc, v1
	v_mul_f32_e32 v2, 0x2f800000, v1
	v_trunc_f32_e32 v2, v2
	v_madmk_f32 v1, v2, 0xcf800000, v1
	v_cvt_u32_f32_e32 v2, v2
	v_cvt_u32_f32_e32 v1, v1
	v_readfirstlane_b32 s16, v2
	v_readfirstlane_b32 s17, v1
	s_mul_i32 s18, s10, s16
	s_mul_hi_u32 s20, s10, s17
	s_mul_i32 s19, s11, s17
	s_add_i32 s18, s20, s18
	s_add_i32 s18, s18, s19
	s_mul_i32 s21, s10, s17
	s_mul_hi_u32 s19, s17, s18
	s_mul_i32 s20, s17, s18
	s_mul_hi_u32 s17, s17, s21
	s_add_u32 s17, s17, s20
	s_addc_u32 s19, 0, s19
	s_mul_hi_u32 s22, s16, s21
	s_mul_i32 s21, s16, s21
	s_add_u32 s17, s17, s21
	s_mul_hi_u32 s20, s16, s18
	s_addc_u32 s17, s19, s22
	s_addc_u32 s19, s20, 0
	s_mul_i32 s18, s16, s18
	s_add_u32 s17, s17, s18
	s_addc_u32 s18, 0, s19
	v_add_co_u32_e32 v1, vcc, s17, v1
	s_cmp_lg_u64 vcc, 0
	s_addc_u32 s16, s16, s18
	v_readfirstlane_b32 s18, v1
	s_mul_i32 s17, s10, s16
	s_mul_hi_u32 s19, s10, s18
	s_add_i32 s17, s19, s17
	s_mul_i32 s11, s11, s18
	s_add_i32 s17, s17, s11
	s_mul_i32 s10, s10, s18
	s_mul_hi_u32 s19, s16, s10
	s_mul_i32 s20, s16, s10
	s_mul_i32 s22, s18, s17
	s_mul_hi_u32 s10, s18, s10
	s_mul_hi_u32 s21, s18, s17
	s_add_u32 s10, s10, s22
	s_addc_u32 s18, 0, s21
	s_add_u32 s10, s10, s20
	s_mul_hi_u32 s11, s16, s17
	s_addc_u32 s10, s18, s19
	s_addc_u32 s11, s11, 0
	s_mul_i32 s17, s16, s17
	s_add_u32 s10, s10, s17
	s_addc_u32 s11, 0, s11
	v_add_co_u32_e32 v1, vcc, s10, v1
	s_cmp_lg_u64 vcc, 0
	s_addc_u32 s18, s16, s11
	s_ashr_i32 s10, s3, 31
	s_add_u32 s16, s2, s10
	s_mov_b32 s11, s10
	s_addc_u32 s17, s3, s10
	s_xor_b64 s[16:17], s[16:17], s[10:11]
	v_readfirstlane_b32 s20, v1
	s_mul_i32 s19, s16, s18
	s_mul_hi_u32 s21, s16, s20
	s_mul_hi_u32 s3, s16, s18
	s_add_u32 s19, s21, s19
	s_addc_u32 s3, 0, s3
	s_mul_hi_u32 s22, s17, s20
	s_mul_i32 s20, s17, s20
	s_add_u32 s19, s19, s20
	s_mul_hi_u32 s21, s17, s18
	s_addc_u32 s3, s3, s22
	s_addc_u32 s19, s21, 0
	s_mul_i32 s18, s17, s18
	s_add_u32 s3, s3, s18
	s_addc_u32 s18, 0, s19
	s_add_u32 s19, s3, 1
	s_addc_u32 s20, s18, 0
	s_add_u32 s21, s3, 2
	s_mul_i32 s23, s9, s18
	s_mul_hi_u32 s24, s9, s3
	s_addc_u32 s22, s18, 0
	s_add_i32 s24, s24, s23
	s_mul_i32 s23, s9, s3
	v_mov_b32_e32 v1, s23
	v_sub_co_u32_e32 v1, vcc, s16, v1
	s_cmp_lg_u64 vcc, 0
	s_subb_u32 s16, s17, s24
	v_subrev_co_u32_e32 v2, vcc, s9, v1
	s_cmp_lg_u64 vcc, 0
	s_subb_u32 s17, s16, 0
	v_readfirstlane_b32 s23, v2
	s_cmp_ge_u32 s23, s9
	s_cselect_b32 s23, -1, 0
	s_cmp_eq_u32 s17, 0
	s_cselect_b32 s17, s23, -1
	s_cmp_lg_u32 s17, 0
	s_cselect_b32 s17, s22, s20
	v_readfirstlane_b32 s20, v1
	s_cselect_b32 s19, s21, s19
	s_cmp_ge_u32 s20, s9
	s_cselect_b32 s20, -1, 0
	s_cmp_eq_u32 s16, 0
	s_cselect_b32 s16, s20, -1
	s_cmp_lg_u32 s16, 0
	s_cselect_b32 s17, s17, s18
	s_cselect_b32 s16, s19, s3
	s_xor_b64 s[16:17], s[16:17], s[10:11]
	s_sub_u32 s20, s16, s10
	s_load_dwordx4 s[16:19], s[4:5], 0x44
	s_cbranch_execnz .LBB21_3
.LBB21_2:
	v_cvt_f32_u32_e32 v1, s9
	s_sub_i32 s0, 0, s9
	v_rcp_iflag_f32_e32 v1, v1
	v_mul_f32_e32 v1, 0x4f7ffffe, v1
	v_cvt_u32_f32_e32 v1, v1
	v_readfirstlane_b32 s1, v1
	s_mul_i32 s0, s0, s1
	s_mul_hi_u32 s0, s1, s0
	s_add_i32 s1, s1, s0
	s_mul_hi_u32 s0, s2, s1
	s_mul_i32 s3, s0, s9
	s_sub_i32 s2, s2, s3
	s_add_i32 s1, s0, 1
	s_sub_i32 s3, s2, s9
	s_cmp_ge_u32 s2, s9
	s_cselect_b32 s0, s1, s0
	s_cselect_b32 s2, s3, s2
	s_add_i32 s1, s0, 1
	s_cmp_ge_u32 s2, s9
	s_cselect_b32 s20, s1, s0
.LBB21_3:
	s_add_i32 s0, s6, 1
	s_mul_hi_i32 s3, s15, s0
	s_mov_b32 s2, 0
	s_cmp_lg_u64 s[2:3], 0
	s_mul_i32 s2, s15, s0
	s_cbranch_scc0 .LBB21_22
; %bb.4:
	v_cvt_f32_u32_e32 v1, s9
	v_cvt_f32_ubyte0_e32 v2, 0
	s_sub_u32 s10, 0, s9
	s_subb_u32 s11, 0, 0
	v_madmk_f32 v1, v2, 0x4f800000, v1
	v_rcp_f32_e32 v1, v1
	v_mul_f32_e32 v1, 0x5f7ffffc, v1
	v_mul_f32_e32 v2, 0x2f800000, v1
	v_trunc_f32_e32 v2, v2
	v_madmk_f32 v1, v2, 0xcf800000, v1
	v_cvt_u32_f32_e32 v2, v2
	v_cvt_u32_f32_e32 v1, v1
	s_waitcnt lgkmcnt(0)
	v_readfirstlane_b32 s19, v2
	v_readfirstlane_b32 s21, v1
	s_mul_i32 s22, s10, s19
	s_mul_hi_u32 s24, s10, s21
	s_mul_i32 s23, s11, s21
	s_add_i32 s22, s24, s22
	s_add_i32 s22, s22, s23
	s_mul_i32 s25, s10, s21
	s_mul_hi_u32 s23, s21, s22
	s_mul_i32 s24, s21, s22
	s_mul_hi_u32 s21, s21, s25
	s_add_u32 s21, s21, s24
	s_addc_u32 s23, 0, s23
	s_mul_hi_u32 s26, s19, s25
	s_mul_i32 s25, s19, s25
	s_add_u32 s21, s21, s25
	s_mul_hi_u32 s24, s19, s22
	s_addc_u32 s21, s23, s26
	s_addc_u32 s23, s24, 0
	s_mul_i32 s22, s19, s22
	s_add_u32 s21, s21, s22
	s_addc_u32 s22, 0, s23
	v_add_co_u32_e32 v1, vcc, s21, v1
	s_cmp_lg_u64 vcc, 0
	s_addc_u32 s19, s19, s22
	v_readfirstlane_b32 s22, v1
	s_mul_i32 s21, s10, s19
	s_mul_hi_u32 s23, s10, s22
	s_add_i32 s21, s23, s21
	s_mul_i32 s11, s11, s22
	s_add_i32 s21, s21, s11
	s_mul_i32 s10, s10, s22
	s_mul_hi_u32 s23, s19, s10
	s_mul_i32 s24, s19, s10
	s_mul_i32 s26, s22, s21
	s_mul_hi_u32 s10, s22, s10
	s_mul_hi_u32 s25, s22, s21
	s_add_u32 s10, s10, s26
	s_addc_u32 s22, 0, s25
	s_add_u32 s10, s10, s24
	s_mul_hi_u32 s11, s19, s21
	s_addc_u32 s10, s22, s23
	s_addc_u32 s11, s11, 0
	s_mul_i32 s21, s19, s21
	s_add_u32 s10, s10, s21
	s_addc_u32 s11, 0, s11
	v_add_co_u32_e32 v1, vcc, s10, v1
	s_cmp_lg_u64 vcc, 0
	s_addc_u32 s19, s19, s11
	s_ashr_i32 s10, s3, 31
	s_add_u32 s22, s2, s10
	s_mov_b32 s11, s10
	s_addc_u32 s23, s3, s10
	s_xor_b64 s[22:23], s[22:23], s[10:11]
	v_readfirstlane_b32 s21, v1
	s_mul_i32 s11, s22, s19
	s_mul_hi_u32 s24, s22, s21
	s_mul_hi_u32 s3, s22, s19
	s_add_u32 s11, s24, s11
	s_addc_u32 s3, 0, s3
	s_mul_hi_u32 s25, s23, s21
	s_mul_i32 s21, s23, s21
	s_add_u32 s11, s11, s21
	s_mul_hi_u32 s24, s23, s19
	s_addc_u32 s3, s3, s25
	s_addc_u32 s11, s24, 0
	s_mul_i32 s19, s23, s19
	s_add_u32 s3, s3, s19
	s_addc_u32 s11, 0, s11
	s_mul_i32 s11, s9, s11
	s_mul_hi_u32 s24, s9, s3
	s_add_i32 s24, s24, s11
	s_mul_i32 s11, s9, s3
	v_mov_b32_e32 v1, s11
	s_add_u32 s19, s3, 1
	s_add_u32 s21, s3, 2
	v_sub_co_u32_e32 v1, vcc, s22, v1
	s_cmp_lg_u64 vcc, 0
	s_subb_u32 s11, s23, s24
	v_subrev_co_u32_e32 v2, vcc, s9, v1
	s_cmp_lg_u64 vcc, 0
	s_subb_u32 s22, s11, 0
	v_cmp_le_u32_e32 vcc, s9, v2
	s_cmp_eq_u32 s22, 0
	v_cndmask_b32_e64 v2, 0, -1, vcc
	s_cselect_b64 vcc, -1, 0
	v_cndmask_b32_e32 v2, -1, v2, vcc
	v_mov_b32_e32 v3, s19
	v_mov_b32_e32 v4, s21
	v_cmp_ne_u32_e32 vcc, 0, v2
	v_cndmask_b32_e32 v2, v3, v4, vcc
	v_cmp_le_u32_e32 vcc, s9, v1
	s_cmp_eq_u32 s11, 0
	v_cndmask_b32_e64 v1, 0, -1, vcc
	s_cselect_b64 vcc, -1, 0
	v_cndmask_b32_e32 v1, -1, v1, vcc
	v_mov_b32_e32 v3, s3
	v_cmp_ne_u32_e32 vcc, 0, v1
	v_cndmask_b32_e32 v1, v3, v2, vcc
	v_xor_b32_e32 v1, s10, v1
	v_subrev_co_u32_e32 v2, vcc, s10, v1
	s_cbranch_execnz .LBB21_6
.LBB21_5:
	v_cvt_f32_u32_e32 v1, s9
	s_sub_i32 s0, 0, s9
	s_mov_b32 s1, 0
	v_rcp_iflag_f32_e32 v1, v1
	v_mul_f32_e32 v1, 0x4f7ffffe, v1
	v_cvt_u32_f32_e32 v1, v1
	v_readfirstlane_b32 s3, v1
	s_mul_i32 s0, s0, s3
	s_mul_hi_u32 s0, s3, s0
	s_add_i32 s3, s3, s0
	s_mul_hi_u32 s0, s2, s3
	s_mul_i32 s10, s0, s9
	s_sub_i32 s2, s2, s10
	s_add_i32 s3, s0, 1
	s_sub_i32 s10, s2, s9
	s_cmp_ge_u32 s2, s9
	s_cselect_b32 s0, s3, s0
	s_cselect_b32 s2, s10, s2
	s_add_i32 s3, s0, 1
	s_cmp_ge_u32 s2, s9
	s_cselect_b32 s0, s3, s0
	v_pk_mov_b32 v[2:3], s[0:1], s[0:1] op_sel:[0,1]
.LBB21_6:
	s_waitcnt lgkmcnt(0)
	s_mul_hi_u32 s0, s20, s16
	s_add_i32 s0, s0, s20
	v_mul_hi_u32 v1, v2, s16
	s_lshr_b32 s19, s0, s17
	v_add_u32_e32 v1, v1, v2
	s_mul_i32 s0, s19, s18
	v_lshrrev_b32_e32 v1, s17, v1
	s_cmp_eq_u32 s0, s20
	v_cmp_eq_u32_e64 s[0:1], s19, v1
	v_mul_lo_u32 v1, v1, s18
	v_cmp_eq_u32_e32 vcc, s20, v2
	s_cselect_b64 s[10:11], -1, 0
	v_cmp_ne_u32_e64 s[2:3], v1, v2
	s_and_b64 s[0:1], s[0:1], s[2:3]
	s_or_b64 s[2:3], vcc, s[10:11]
	s_or_b64 s[0:1], s[2:3], s[0:1]
	s_and_b64 vcc, exec, s[0:1]
	s_cbranch_vccnz .LBB21_24
; %bb.7:
	s_load_dwordx8 s[24:31], s[4:5], 0x20
	s_load_dword s0, s[4:5], 0x40
	s_mov_b32 s10, 0
	s_waitcnt lgkmcnt(0)
	s_mul_hi_u32 s1, s20, s24
	s_add_i32 s1, s1, s20
	s_lshr_b32 s11, s1, s25
	s_mul_i32 s1, s11, s26
	s_sub_i32 s1, s20, s1
	s_mul_hi_u32 s2, s1, s27
	s_add_i32 s2, s1, s2
	s_lshr_b32 s25, s2, s28
	s_mul_i32 s2, s25, s29
	s_sub_i32 s1, s1, s2
	;; [unrolled: 5-line block ×3, first 2 shown]
	s_mul_hi_u32 s1, s0, s16
	s_add_i32 s0, s0, s1
	s_lshr_b32 s26, s0, s17
	s_lshl_b32 s0, s26, 1
	s_add_i32 s0, s0, s7
	s_cmp_lt_i32 s0, s12
	s_cselect_b64 s[0:1], -1, 0
	s_add_i32 s2, s24, s8
	s_cmp_lt_i32 s2, s14
	s_cselect_b64 s[2:3], -1, 0
	s_and_b64 s[0:1], s[0:1], s[2:3]
	s_andn2_b64 vcc, exec, s[0:1]
	s_cbranch_vccnz .LBB21_24
; %bb.8:
	s_load_dwordx4 s[0:3], s[4:5], 0x0
	s_lshl_b32 s4, s9, 3
	s_mov_b32 s5, s10
	s_add_i32 s21, s7, s8
	s_lshl_b64 s[4:5], s[4:5], 2
	s_waitcnt lgkmcnt(0)
	s_add_u32 s22, s2, s4
	s_mul_i32 s4, s11, s12
	s_addc_u32 s23, s3, s5
	s_add_i32 s4, s4, s7
	s_mul_i32 s4, s4, s13
	s_mul_i32 s25, s25, s14
	s_add_i32 s4, s4, s8
	s_add_i32 s4, s4, s25
	s_mul_i32 s5, s13, s26
	s_add_i32 s4, s4, s24
	s_lshl_b32 s5, s5, 8
	s_lshl_b32 s4, s4, 7
	s_add_i32 s5, s5, s4
	v_or_b32_e32 v2, s5, v0
	v_ashrrev_i32_e32 v3, 31, v2
	v_lshlrev_b64 v[2:3], 2, v[2:3]
	v_mov_b32_e32 v1, s1
	v_add_co_u32_e32 v2, vcc, s0, v2
	v_addc_co_u32_e32 v3, vcc, v1, v3, vcc
	global_load_dword v5, v[2:3], off
	v_lshl_or_b32 v4, s21, 7, v0
	v_cvt_f32_u32_e32 v0, s9
	v_cvt_f32_ubyte0_e32 v1, 0
	s_lshl_b32 s0, s6, 1
	s_add_i32 s0, s0, s21
	v_mac_f32_e32 v0, 0x4f800000, v1
	v_rcp_f32_e32 v0, v0
	v_cvt_f32_u32_e32 v1, s9
	s_ashr_i32 s1, s0, 31
	s_lshl_b64 s[0:1], s[0:1], 3
	v_mul_f32_e32 v0, 0x5f7ffffc, v0
	v_rcp_iflag_f32_e32 v1, v1
	s_add_u32 s0, s2, s0
	v_mul_f32_e32 v9, 0x2f800000, v0
	s_addc_u32 s1, s3, s1
	v_trunc_f32_e32 v10, v9
	s_load_dwordx2 s[0:1], s[0:1], 0x0
	v_mac_f32_e32 v0, 0xcf800000, v10
	v_cvt_u32_f32_e32 v9, v0
	v_mul_f32_e32 v0, 0x4f7ffffe, v1
	v_cvt_u32_f32_e32 v10, v10
	v_cvt_u32_f32_e32 v11, v0
	s_add_i32 s8, s6, -1
	s_waitcnt lgkmcnt(0)
	v_mov_b32_e32 v6, s1
	v_mov_b32_e32 v7, s0
	;; [unrolled: 1-line block ×3, first 2 shown]
	s_mov_b32 s6, 0x3fb8aa3b
	s_mov_b32 s7, 0xc2ce8ed0
	s_mov_b32 s12, 0x42b17218
	s_mov_b32 s13, 0xc1a00000
	v_mov_b32_e32 v12, 0x7f800000
	s_mul_hi_i32 s11, s8, s15
	s_cmp_lg_u64 s[10:11], 0
	s_mul_i32 s4, s8, s15
	s_cbranch_scc0 .LBB21_15
.LBB21_9:
	s_sub_u32 s0, 0, s9
	v_readfirstlane_b32 s5, v9
	v_readfirstlane_b32 s24, v10
	s_subb_u32 s1, 0, 0
	s_mul_hi_u32 s20, s0, s5
	s_mul_i32 s25, s0, s24
	s_mul_i32 s14, s1, s5
	s_add_i32 s20, s20, s25
	s_add_i32 s20, s20, s14
	s_mul_i32 s26, s0, s5
	s_mul_hi_u32 s14, s5, s20
	s_mul_i32 s25, s5, s20
	s_mul_hi_u32 s5, s5, s26
	s_add_u32 s5, s5, s25
	s_addc_u32 s14, 0, s14
	s_mul_hi_u32 s27, s24, s26
	s_mul_i32 s26, s24, s26
	s_add_u32 s5, s5, s26
	s_mul_hi_u32 s25, s24, s20
	s_addc_u32 s5, s14, s27
	s_addc_u32 s14, s25, 0
	s_mul_i32 s20, s24, s20
	s_add_u32 s5, s5, s20
	s_addc_u32 s14, 0, s14
	v_add_co_u32_e32 v0, vcc, s5, v9
	s_cmp_lg_u64 vcc, 0
	s_addc_u32 s5, s24, s14
	v_readfirstlane_b32 s20, v0
	s_mul_i32 s14, s0, s5
	s_mul_hi_u32 s24, s0, s20
	s_add_i32 s14, s24, s14
	s_mul_i32 s1, s1, s20
	s_add_i32 s14, s14, s1
	s_mul_i32 s0, s0, s20
	s_mul_hi_u32 s24, s5, s0
	s_mul_i32 s25, s5, s0
	s_mul_i32 s27, s20, s14
	s_mul_hi_u32 s0, s20, s0
	s_mul_hi_u32 s26, s20, s14
	s_add_u32 s0, s0, s27
	s_addc_u32 s20, 0, s26
	s_add_u32 s0, s0, s25
	s_mul_hi_u32 s1, s5, s14
	s_addc_u32 s0, s20, s24
	s_addc_u32 s1, s1, 0
	s_mul_i32 s14, s5, s14
	s_add_u32 s0, s0, s14
	s_addc_u32 s1, 0, s1
	v_add_co_u32_e32 v0, vcc, s0, v0
	s_cmp_lg_u64 vcc, 0
	s_addc_u32 s5, s5, s1
	s_ashr_i32 s0, s11, 31
	s_add_u32 s24, s4, s0
	s_mov_b32 s1, s0
	s_addc_u32 s25, s11, s0
	s_xor_b64 s[24:25], s[24:25], s[0:1]
	v_readfirstlane_b32 s14, v0
	s_mul_i32 s11, s24, s5
	s_mul_hi_u32 s20, s24, s14
	s_mul_hi_u32 s1, s24, s5
	s_add_u32 s11, s20, s11
	s_addc_u32 s1, 0, s1
	s_mul_hi_u32 s26, s25, s14
	s_mul_i32 s14, s25, s14
	s_add_u32 s11, s11, s14
	s_mul_hi_u32 s20, s25, s5
	s_addc_u32 s1, s1, s26
	s_addc_u32 s11, s20, 0
	s_mul_i32 s5, s25, s5
	s_add_u32 s1, s1, s5
	s_addc_u32 s5, 0, s11
	s_mul_i32 s5, s9, s5
	s_mul_hi_u32 s20, s9, s1
	s_add_i32 s20, s20, s5
	s_mul_i32 s5, s9, s1
	v_mov_b32_e32 v0, s5
	s_add_u32 s11, s1, 1
	s_add_u32 s14, s1, 2
	v_sub_co_u32_e32 v0, vcc, s24, v0
	s_cmp_lg_u64 vcc, 0
	s_subb_u32 s5, s25, s20
	v_subrev_co_u32_e32 v1, vcc, s9, v0
	s_cmp_lg_u64 vcc, 0
	s_subb_u32 s20, s5, 0
	v_cmp_le_u32_e32 vcc, s9, v1
	s_cmp_eq_u32 s20, 0
	v_cndmask_b32_e64 v1, 0, -1, vcc
	s_cselect_b64 vcc, -1, 0
	v_cndmask_b32_e32 v1, -1, v1, vcc
	v_mov_b32_e32 v13, s11
	v_mov_b32_e32 v14, s14
	v_cmp_ne_u32_e32 vcc, 0, v1
	v_cndmask_b32_e32 v1, v13, v14, vcc
	v_cmp_le_u32_e32 vcc, s9, v0
	s_cmp_eq_u32 s5, 0
	v_cndmask_b32_e64 v0, 0, -1, vcc
	s_cselect_b64 vcc, -1, 0
	v_cndmask_b32_e32 v0, -1, v0, vcc
	v_mov_b32_e32 v13, s1
	v_cmp_ne_u32_e32 vcc, 0, v0
	v_cndmask_b32_e32 v0, v13, v1, vcc
	v_xor_b32_e32 v0, s0, v0
	v_subrev_co_u32_e32 v0, vcc, s0, v0
	s_cbranch_execnz .LBB21_11
.LBB21_10:
	s_sub_i32 s0, 0, s9
	v_mul_lo_u32 v0, s0, v11
	v_mul_hi_u32 v0, v11, v0
	v_add_u32_e32 v0, v11, v0
	v_mul_hi_u32 v0, s4, v0
	v_mul_lo_u32 v13, v0, s9
	v_sub_u32_e32 v13, s4, v13
	v_add_u32_e32 v1, 1, v0
	v_subrev_u32_e32 v14, s9, v13
	v_cmp_le_u32_e32 vcc, s9, v13
	v_cndmask_b32_e32 v13, v13, v14, vcc
	v_cndmask_b32_e32 v0, v0, v1, vcc
	v_add_u32_e32 v1, 1, v0
	v_cmp_le_u32_e32 vcc, s9, v13
	v_cndmask_b32_e32 v0, v0, v1, vcc
.LBB21_11:
	v_cmp_ne_u32_e32 vcc, v8, v0
	s_cbranch_vccz .LBB21_14
; %bb.12:
	s_add_i32 s0, s8, s9
	s_lshl_b32 s0, s0, 1
	v_mul_hi_u32 v1, v0, s16
	s_add_i32 s0, s0, s21
	s_mov_b32 s1, s10
	v_add_u32_e32 v1, v1, v0
	s_lshl_b64 s[0:1], s[0:1], 3
	v_lshrrev_b32_e32 v1, s17, v1
	s_add_u32 s4, s2, s0
	v_mul_lo_u32 v13, v1, s18
	s_addc_u32 s5, s3, s1
	v_cmp_eq_u32_e32 vcc, v13, v0
	v_cmp_gt_u32_e64 s[0:1], s19, v1
	s_or_b64 s[0:1], s[0:1], vcc
	s_and_b64 vcc, exec, s[0:1]
	s_cbranch_vccnz .LBB21_16
; %bb.13:
	s_add_i32 s11, s8, -1
	s_mov_b64 s[0:1], 0
	s_branch .LBB21_17
.LBB21_14:
                                        ; implicit-def: $sgpr0_sgpr1
                                        ; implicit-def: $vgpr14
                                        ; implicit-def: $vgpr1
                                        ; implicit-def: $vgpr13
                                        ; implicit-def: $sgpr11
                                        ; implicit-def: $vgpr0
	s_branch .LBB21_18
.LBB21_15:
                                        ; implicit-def: $vgpr0_vgpr1
	s_branch .LBB21_10
.LBB21_16:
	s_mov_b64 s[0:1], -1
	s_mov_b32 s11, s8
	v_mov_b32_e32 v0, v8
.LBB21_17:
	v_lshl_add_u32 v14, s8, 8, v4
	v_ashrrev_i32_e32 v15, 31, v14
	v_lshlrev_b64 v[14:15], 2, v[14:15]
	v_mov_b32_e32 v1, s23
	v_add_co_u32_e32 v14, vcc, s22, v14
	v_addc_co_u32_e32 v15, vcc, v1, v15, vcc
	global_load_dword v14, v[14:15], off
	s_load_dwordx2 s[4:5], s[4:5], 0x0
	v_max_f32_e32 v1, v7, v7
	s_waitcnt lgkmcnt(0)
	v_max_f32_e64 v13, s4, s4
	v_max_f32_e32 v1, v1, v13
	v_sub_f32_e32 v13, v7, v1
	v_sub_f32_e32 v15, s4, v1
	v_mul_f32_e32 v16, 0x3fb8aa3b, v13
	v_mul_f32_e32 v17, 0x3fb8aa3b, v15
	v_fma_f32 v18, v13, s6, -v16
	v_rndne_f32_e32 v19, v16
	v_fma_f32 v20, v15, s6, -v17
	v_rndne_f32_e32 v21, v17
	v_fmac_f32_e32 v18, 0x32a5705f, v13
	v_sub_f32_e32 v16, v16, v19
	v_fmac_f32_e32 v20, 0x32a5705f, v15
	v_sub_f32_e32 v17, v17, v21
	v_add_f32_e32 v16, v16, v18
	v_cvt_i32_f32_e32 v19, v19
	v_add_f32_e32 v17, v17, v20
	v_exp_f32_e32 v16, v16
	v_cvt_i32_f32_e32 v21, v21
	v_exp_f32_e32 v17, v17
	v_cmp_ngt_f32_e32 vcc, s7, v13
	v_ldexp_f32 v16, v16, v19
	v_cndmask_b32_e32 v16, 0, v16, vcc
	v_ldexp_f32 v17, v17, v21
	v_cmp_ngt_f32_e32 vcc, s7, v15
	v_cndmask_b32_e32 v17, 0, v17, vcc
	v_cmp_nlt_f32_e32 vcc, s12, v13
	v_cndmask_b32_e32 v16, v12, v16, vcc
	v_cmp_nlt_f32_e32 vcc, s12, v15
	v_cndmask_b32_e32 v17, v12, v17, vcc
	v_cmp_le_f32_e32 vcc, s13, v13
	v_cndmask_b32_e32 v16, 0, v16, vcc
	v_cmp_le_f32_e32 vcc, s13, v15
	v_cndmask_b32_e32 v15, 0, v17, vcc
	v_mul_f32_e32 v13, s5, v15
	v_fmac_f32_e32 v13, v6, v16
	s_waitcnt vmcnt(0)
	v_mul_f32_e32 v14, v14, v15
	v_fmac_f32_e32 v14, v5, v16
	s_cbranch_execnz .LBB21_19
.LBB21_18:
	s_add_i32 s11, s8, -1
	s_mov_b64 s[0:1], 0
	v_mov_b32_e32 v0, v8
	v_mov_b32_e32 v13, v6
	v_mov_b32_e32 v1, v7
	s_waitcnt vmcnt(0)
	v_mov_b32_e32 v14, v5
.LBB21_19:
	s_andn2_b64 vcc, exec, s[0:1]
	s_cbranch_vccz .LBB21_23
; %bb.20:
	v_mov_b32_e32 v8, v0
	s_mov_b32 s8, s11
	v_mov_b32_e32 v6, v13
	v_mov_b32_e32 v7, v1
	s_waitcnt vmcnt(0)
	v_mov_b32_e32 v5, v14
	s_mul_hi_i32 s11, s8, s15
	s_cmp_lg_u64 s[10:11], 0
	s_mul_i32 s4, s8, s15
	s_cbranch_scc1 .LBB21_9
	s_branch .LBB21_15
.LBB21_21:
                                        ; implicit-def: $sgpr20_sgpr21
	s_load_dwordx4 s[16:19], s[4:5], 0x44
	s_branch .LBB21_2
.LBB21_22:
                                        ; implicit-def: $vgpr2_vgpr3
	s_branch .LBB21_5
.LBB21_23:
	v_div_scale_f32 v0, s[0:1], v13, v13, v14
	v_rcp_f32_e32 v1, v0
	v_div_scale_f32 v4, vcc, v14, v13, v14
	s_waitcnt vmcnt(0)
	v_fma_f32 v5, -v0, v1, 1.0
	v_fmac_f32_e32 v1, v5, v1
	v_mul_f32_e32 v5, v4, v1
	v_fma_f32 v6, -v0, v5, v4
	v_fmac_f32_e32 v5, v6, v1
	v_fma_f32 v0, -v0, v5, v4
	v_div_fmas_f32 v0, v0, v1, v5
	v_div_fixup_f32 v0, v0, v13, v14
	global_store_dword v[2:3], v0, off
.LBB21_24:
	s_endpgm
	.section	.rodata,"a",@progbits
	.p2align	6, 0x0
	.amdhsa_kernel _ZL33flash_attn_stream_k_fixup_generalILi128ELi2ELi1EEvPfPK15HIP_vector_typeIfLj2EEiiiiS1_IjLj3EES5_S5_S5_
		.amdhsa_group_segment_fixed_size 0
		.amdhsa_private_segment_fixed_size 0
		.amdhsa_kernarg_size 336
		.amdhsa_user_sgpr_count 6
		.amdhsa_user_sgpr_private_segment_buffer 1
		.amdhsa_user_sgpr_dispatch_ptr 0
		.amdhsa_user_sgpr_queue_ptr 0
		.amdhsa_user_sgpr_kernarg_segment_ptr 1
		.amdhsa_user_sgpr_dispatch_id 0
		.amdhsa_user_sgpr_flat_scratch_init 0
		.amdhsa_user_sgpr_kernarg_preload_length 0
		.amdhsa_user_sgpr_kernarg_preload_offset 0
		.amdhsa_user_sgpr_private_segment_size 0
		.amdhsa_uses_dynamic_stack 0
		.amdhsa_system_sgpr_private_segment_wavefront_offset 0
		.amdhsa_system_sgpr_workgroup_id_x 1
		.amdhsa_system_sgpr_workgroup_id_y 1
		.amdhsa_system_sgpr_workgroup_id_z 1
		.amdhsa_system_sgpr_workgroup_info 0
		.amdhsa_system_vgpr_workitem_id 0
		.amdhsa_next_free_vgpr 22
		.amdhsa_next_free_sgpr 32
		.amdhsa_accum_offset 24
		.amdhsa_reserve_vcc 1
		.amdhsa_reserve_flat_scratch 0
		.amdhsa_float_round_mode_32 0
		.amdhsa_float_round_mode_16_64 0
		.amdhsa_float_denorm_mode_32 3
		.amdhsa_float_denorm_mode_16_64 3
		.amdhsa_dx10_clamp 1
		.amdhsa_ieee_mode 1
		.amdhsa_fp16_overflow 0
		.amdhsa_tg_split 0
		.amdhsa_exception_fp_ieee_invalid_op 0
		.amdhsa_exception_fp_denorm_src 0
		.amdhsa_exception_fp_ieee_div_zero 0
		.amdhsa_exception_fp_ieee_overflow 0
		.amdhsa_exception_fp_ieee_underflow 0
		.amdhsa_exception_fp_ieee_inexact 0
		.amdhsa_exception_int_div_zero 0
	.end_amdhsa_kernel
	.section	.text._ZL33flash_attn_stream_k_fixup_generalILi128ELi2ELi1EEvPfPK15HIP_vector_typeIfLj2EEiiiiS1_IjLj3EES5_S5_S5_,"axG",@progbits,_ZL33flash_attn_stream_k_fixup_generalILi128ELi2ELi1EEvPfPK15HIP_vector_typeIfLj2EEiiiiS1_IjLj3EES5_S5_S5_,comdat
.Lfunc_end21:
	.size	_ZL33flash_attn_stream_k_fixup_generalILi128ELi2ELi1EEvPfPK15HIP_vector_typeIfLj2EEiiiiS1_IjLj3EES5_S5_S5_, .Lfunc_end21-_ZL33flash_attn_stream_k_fixup_generalILi128ELi2ELi1EEvPfPK15HIP_vector_typeIfLj2EEiiiiS1_IjLj3EES5_S5_S5_
                                        ; -- End function
	.section	.AMDGPU.csdata,"",@progbits
; Kernel info:
; codeLenInByte = 2816
; NumSgprs: 36
; NumVgprs: 22
; NumAgprs: 0
; TotalNumVgprs: 22
; ScratchSize: 0
; MemoryBound: 0
; FloatMode: 240
; IeeeMode: 1
; LDSByteSize: 0 bytes/workgroup (compile time only)
; SGPRBlocks: 4
; VGPRBlocks: 2
; NumSGPRsForWavesPerEU: 36
; NumVGPRsForWavesPerEU: 22
; AccumOffset: 24
; Occupancy: 8
; WaveLimiterHint : 0
; COMPUTE_PGM_RSRC2:SCRATCH_EN: 0
; COMPUTE_PGM_RSRC2:USER_SGPR: 6
; COMPUTE_PGM_RSRC2:TRAP_HANDLER: 0
; COMPUTE_PGM_RSRC2:TGID_X_EN: 1
; COMPUTE_PGM_RSRC2:TGID_Y_EN: 1
; COMPUTE_PGM_RSRC2:TGID_Z_EN: 1
; COMPUTE_PGM_RSRC2:TIDIG_COMP_CNT: 0
; COMPUTE_PGM_RSRC3_GFX90A:ACCUM_OFFSET: 5
; COMPUTE_PGM_RSRC3_GFX90A:TG_SPLIT: 0
	.section	.text._ZL18flash_attn_ext_vecILi128ELi2EL9ggml_type6ELS0_8ELb1EEvPKcS2_S2_S2_S2_PKiPfP15HIP_vector_typeIfLj2EEffffjfiS6_IjLj3EEiiiiiiiiiiiliiliiiiil,"axG",@progbits,_ZL18flash_attn_ext_vecILi128ELi2EL9ggml_type6ELS0_8ELb1EEvPKcS2_S2_S2_S2_PKiPfP15HIP_vector_typeIfLj2EEffffjfiS6_IjLj3EEiiiiiiiiiiiliiliiiiil,comdat
	.globl	_ZL18flash_attn_ext_vecILi128ELi2EL9ggml_type6ELS0_8ELb1EEvPKcS2_S2_S2_S2_PKiPfP15HIP_vector_typeIfLj2EEffffjfiS6_IjLj3EEiiiiiiiiiiiliiliiiiil ; -- Begin function _ZL18flash_attn_ext_vecILi128ELi2EL9ggml_type6ELS0_8ELb1EEvPKcS2_S2_S2_S2_PKiPfP15HIP_vector_typeIfLj2EEffffjfiS6_IjLj3EEiiiiiiiiiiiliiliiiiil
	.p2align	8
	.type	_ZL18flash_attn_ext_vecILi128ELi2EL9ggml_type6ELS0_8ELb1EEvPKcS2_S2_S2_S2_PKiPfP15HIP_vector_typeIfLj2EEffffjfiS6_IjLj3EEiiiiiiiiiiiliiliiiiil,@function
_ZL18flash_attn_ext_vecILi128ELi2EL9ggml_type6ELS0_8ELb1EEvPKcS2_S2_S2_S2_PKiPfP15HIP_vector_typeIfLj2EEffffjfiS6_IjLj3EEiiiiiiiiiiiliiliiiiil: ; @_ZL18flash_attn_ext_vecILi128ELi2EL9ggml_type6ELS0_8ELb1EEvPKcS2_S2_S2_S2_PKiPfP15HIP_vector_typeIfLj2EEffffjfiS6_IjLj3EEiiiiiiiiiiiliiliiiiil
; %bb.0:
	s_load_dwordx2 s[34:35], s[6:7], 0x64
	s_load_dwordx2 s[46:47], s[6:7], 0x80
	;; [unrolled: 1-line block ×3, first 2 shown]
	s_load_dwordx4 s[12:15], s[6:7], 0x40
	s_load_dwordx2 s[38:39], s[6:7], 0x50
	v_mov_b32_e32 v214, 1.0
	s_waitcnt lgkmcnt(0)
	v_cvt_f32_u32_e32 v1, s35
	s_sub_i32 s0, 0, s35
	v_rcp_iflag_f32_e32 v1, v1
	v_mul_f32_e32 v1, 0x4f7ffffe, v1
	v_cvt_u32_f32_e32 v1, v1
	v_readfirstlane_b32 s1, v1
	s_mul_i32 s0, s0, s1
	s_mul_hi_u32 s0, s1, s0
	s_add_i32 s1, s1, s0
	s_mul_hi_u32 s0, s10, s1
	s_mul_i32 s1, s0, s35
	s_sub_i32 s1, s10, s1
	s_add_i32 s2, s0, 1
	s_sub_i32 s3, s1, s35
	s_cmp_ge_u32 s1, s35
	s_cselect_b32 s0, s2, s0
	s_cselect_b32 s1, s3, s1
	s_add_i32 s2, s0, 1
	s_cmp_ge_u32 s1, s35
	s_cselect_b32 s52, s2, s0
	s_abs_i32 s0, s47
	v_cvt_f32_u32_e32 v1, s0
	s_mul_i32 s3, s52, s35
	s_sub_i32 s11, 0, s0
	s_sub_i32 s36, s10, s3
	v_rcp_iflag_f32_e32 v1, v1
	s_abs_i32 s2, s35
	s_xor_b32 s1, s35, s47
	s_ashr_i32 s1, s1, 31
	v_mul_f32_e32 v1, 0x4f7ffffe, v1
	v_cvt_u32_f32_e32 v1, v1
	v_readfirstlane_b32 s3, v1
	s_mul_i32 s11, s11, s3
	s_mul_hi_u32 s10, s3, s11
	s_add_i32 s3, s3, s10
	s_mul_hi_u32 s3, s2, s3
	s_mul_i32 s10, s3, s0
	s_sub_i32 s2, s2, s10
	s_add_i32 s11, s3, 1
	s_sub_i32 s10, s2, s0
	s_cmp_ge_u32 s2, s0
	s_cselect_b32 s3, s11, s3
	s_cselect_b32 s2, s10, s2
	s_add_i32 s10, s3, 1
	s_cmp_ge_u32 s2, s0
	s_cselect_b32 s0, s10, s3
	s_xor_b32 s0, s0, s1
	s_sub_i32 s43, s0, s1
	s_abs_i32 s40, s40
	s_abs_i32 s42, s43
	v_cvt_f32_u32_e32 v1, s40
	v_cvt_f32_u32_e32 v2, s42
	v_cmp_le_f32_e64 s[0:1], s13, 0
	s_and_b64 vcc, exec, s[0:1]
	v_rcp_iflag_f32_e32 v1, v1
	v_rcp_iflag_f32_e32 v2, v2
	v_mul_f32_e32 v1, 0x4f7ffffe, v1
	v_mul_f32_e32 v2, 0x4f7ffffe, v2
	v_cvt_u32_f32_e32 v1, v1
	v_cvt_u32_f32_e32 v2, v2
	v_readfirstlane_b32 s44, v1
	v_readfirstlane_b32 s45, v2
	s_cbranch_vccnz .LBB22_2
; %bb.1:
	s_sub_i32 s0, s36, s38
	s_lshl_b32 s0, s0, 1
	s_add_i32 s2, s36, 1
	s_or_b32 s3, s0, 1
	s_cmp_lt_u32 s36, s38
	s_cselect_b64 vcc, -1, 0
	s_and_b64 s[0:1], vcc, exec
	v_mov_b32_e32 v1, s15
	v_mov_b32_e32 v2, s14
	s_cselect_b32 s0, s2, s3
	v_cndmask_b32_e32 v18, v1, v2, vcc
	v_cvt_f32_i32_e32 v1, s0
	v_cmp_neq_f32_e32 vcc, 1.0, v18
	s_mov_b32 s0, 0x3f2aaaab
	s_movk_i32 s2, 0x204
	v_cndmask_b32_e32 v19, 1.0, v1, vcc
	v_cmp_eq_f32_e32 vcc, 0, v19
	v_cndmask_b32_e64 v20, |v18|, 1.0, vcc
	v_frexp_mant_f32_e32 v1, v20
	v_cmp_gt_f32_e64 s[0:1], s0, v1
	v_cndmask_b32_e64 v2, 1.0, 2.0, s[0:1]
	v_mul_f32_e32 v1, v1, v2
	v_add_f32_e32 v2, 1.0, v1
	v_rcp_f32_e32 v10, v2
	v_add_f32_e32 v3, -1.0, v2
	v_sub_f32_e32 v5, v1, v3
	v_add_f32_e32 v3, -1.0, v1
	v_mul_f32_e32 v1, v3, v10
	v_mul_f32_e32 v4, v2, v1
	v_fma_f32 v6, v1, v2, -v4
	v_fmac_f32_e32 v6, v1, v5
	v_add_f32_e32 v2, v4, v6
	v_sub_f32_e32 v5, v3, v2
	v_pk_add_f32 v[8:9], v[2:3], v[4:5] neg_lo:[0,1] neg_hi:[0,1]
	v_mov_b32_e32 v7, v2
	v_pk_add_f32 v[2:3], v[8:9], v[6:7] neg_lo:[0,1] neg_hi:[0,1]
	v_add_f32_e32 v2, v2, v3
	v_add_f32_e32 v2, v5, v2
	v_mul_f32_e32 v3, v10, v2
	v_add_f32_e32 v2, v1, v3
	v_sub_f32_e32 v1, v2, v1
	v_sub_f32_e32 v1, v3, v1
	v_mul_f32_e32 v3, v2, v2
	v_fma_f32 v5, v2, v2, -v3
	v_add_f32_e32 v4, v1, v1
	v_fmac_f32_e32 v5, v2, v4
	v_add_f32_e32 v4, v3, v5
	v_mov_b32_e32 v6, 0x3e91f4c4
	v_fmac_f32_e32 v6, 0x3e76c4e1, v4
	v_mov_b32_e32 v7, 0x3ecccdef
	v_fmac_f32_e32 v7, v4, v6
	v_sub_f32_e32 v3, v4, v3
	v_sub_f32_e32 v12, v5, v3
	v_mul_f32_e32 v3, v4, v7
	v_fma_f32 v5, v4, v7, -v3
	v_fmac_f32_e32 v5, v12, v7
	v_add_f32_e32 v6, v3, v5
	v_add_f32_e32 v7, 0x3f2aaaaa, v6
	v_sub_f32_e32 v3, v6, v3
	v_sub_f32_e32 v3, v5, v3
	v_add_f32_e32 v5, 0xbf2aaaaa, v7
	v_add_f32_e32 v3, 0x31739010, v3
	v_sub_f32_e32 v5, v6, v5
	v_pk_mul_f32 v[8:9], v[2:3], v[4:5]
	v_fma_f32 v6, v4, v2, -v8
	v_pk_add_f32 v[10:11], v[2:3], v[4:5]
	v_fmac_f32_e32 v6, v4, v1
	v_mov_b32_e32 v9, v11
	v_fmac_f32_e32 v6, v12, v2
	v_pk_add_f32 v[4:5], v[8:9], v[6:7]
	v_sub_f32_e32 v3, v4, v8
	v_sub_f32_e32 v3, v6, v3
	;; [unrolled: 1-line block ×3, first 2 shown]
	v_add_f32_e32 v9, v11, v6
	v_mov_b32_e32 v6, v5
	v_pk_mul_f32 v[6:7], v[4:5], v[6:7]
	v_cvt_f64_f32_e32 v[10:11], v20
	v_frexp_exp_i32_f64_e32 v7, v[10:11]
	v_subbrev_co_u32_e64 v7, s[0:1], 0, v7, s[0:1]
	v_cvt_f32_i32_e32 v7, v7
	v_fma_f32 v8, v4, v5, -v6
	v_fmac_f32_e32 v8, v4, v9
	s_mov_b32 s0, 0x3f317218
	v_mul_f32_e32 v4, 0x3f317218, v7
	v_fmac_f32_e32 v8, v3, v5
	v_fma_f32 v10, v7, s0, -v4
	v_fmac_f32_e32 v10, 0xb102e308, v7
	v_ldexp_f32 v11, v2, 1
	v_add_f32_e32 v5, v6, v8
	v_pk_add_f32 v[2:3], v[4:5], v[10:11]
	v_mov_b32_e32 v12, v5
	v_mov_b32_e32 v13, v3
	;; [unrolled: 1-line block ×3, first 2 shown]
	v_pk_add_f32 v[6:7], v[12:13], v[6:7] neg_lo:[0,1] neg_hi:[0,1]
	v_mov_b32_e32 v9, v5
	v_ldexp_f32 v1, v1, 1
	v_pk_add_f32 v[6:7], v[8:9], v[6:7] neg_lo:[0,1] neg_hi:[0,1]
	v_add_f32_e32 v1, v1, v6
	v_add_f32_e32 v5, v1, v7
	v_pk_add_f32 v[6:7], v[2:3], v[4:5] neg_lo:[0,1] neg_hi:[0,1]
	v_pk_add_f32 v[8:9], v[2:3], v[4:5]
	v_mov_b32_e32 v12, v6
	v_mov_b32_e32 v13, v9
	;; [unrolled: 1-line block ×3, first 2 shown]
	v_pk_add_f32 v[12:13], v[10:11], v[12:13]
	v_mov_b32_e32 v4, v13
	v_pk_add_f32 v[14:15], v[4:5], v[2:3] neg_lo:[0,1] neg_hi:[0,1]
	v_mov_b32_e32 v1, v14
	v_mov_b32_e32 v12, v9
	v_mov_b32_e32 v2, v3
	v_mov_b32_e32 v3, v14
	v_pk_add_f32 v[6:7], v[10:11], v[6:7] neg_lo:[0,1] neg_hi:[0,1]
	v_pk_add_f32 v[16:17], v[8:9], v[0:1] neg_lo:[0,1] neg_hi:[0,1]
	v_pk_add_f32 v[2:3], v[12:13], v[2:3] neg_lo:[0,1] neg_hi:[0,1]
	v_mov_b32_e32 v10, v5
	v_pk_add_f32 v[2:3], v[10:11], v[2:3] neg_lo:[0,1] neg_hi:[0,1]
	v_mov_b32_e32 v16, v6
	v_pk_add_f32 v[8:9], v[16:17], v[2:3]
	v_mov_b32_e32 v10, v9
	v_pk_add_f32 v[10:11], v[8:9], v[10:11]
	v_pk_add_f32 v[4:5], v[4:5], v[10:11]
	v_mov_b32_e32 v7, v13
	v_mov_b32_e32 v9, v4
	v_pk_add_f32 v[12:13], v[8:9], v[6:7] neg_lo:[0,1] neg_hi:[0,1]
	v_mov_b32_e32 v3, v10
	v_sub_f32_e32 v1, v8, v12
	v_pk_add_f32 v[2:3], v[2:3], v[12:13] neg_lo:[0,1] neg_hi:[0,1]
	v_sub_f32_e32 v1, v6, v1
	v_add_f32_e32 v1, v2, v1
	v_add_f32_e32 v1, v1, v3
	;; [unrolled: 1-line block ×3, first 2 shown]
	v_sub_f32_e32 v3, v2, v4
	v_sub_f32_e32 v1, v1, v3
	v_mul_f32_e32 v3, v19, v2
	v_fma_f32 v2, v19, v2, -v3
	v_fmac_f32_e32 v2, v19, v1
	v_add_f32_e32 v1, v3, v2
	v_cmp_class_f32_e64 s[0:1], v3, s2
	v_sub_f32_e32 v4, v1, v3
	v_cndmask_b32_e64 v1, v1, v3, s[0:1]
	s_mov_b32 s10, 0x42b17218
	v_mov_b32_e32 v3, 0x37000000
	v_cmp_eq_f32_e64 s[0:1], s10, v1
	v_cndmask_b32_e64 v3, 0, v3, s[0:1]
	v_sub_f32_e32 v2, v2, v4
	v_sub_f32_e32 v4, v1, v3
	s_mov_b32 s0, 0x3fb8aa3b
	v_mul_f32_e32 v5, 0x3fb8aa3b, v4
	v_fma_f32 v6, v4, s0, -v5
	v_rndne_f32_e32 v7, v5
	v_fmac_f32_e32 v6, 0x32a5705f, v4
	v_sub_f32_e32 v5, v5, v7
	v_add_f32_e32 v5, v5, v6
	v_exp_f32_e32 v5, v5
	v_cvt_i32_f32_e32 v6, v7
	s_mov_b32 s3, 0x7f800000
	v_cmp_neq_f32_e64 s[0:1], |v1|, s3
	v_cndmask_b32_e64 v1, 0, v2, s[0:1]
	s_mov_b32 s0, 0xc2ce8ed0
	v_ldexp_f32 v2, v5, v6
	v_cmp_ngt_f32_e64 s[0:1], s0, v4
	v_add_f32_e32 v1, v3, v1
	v_cndmask_b32_e64 v2, 0, v2, s[0:1]
	v_mov_b32_e32 v3, 0x7f800000
	v_cmp_nlt_f32_e64 s[0:1], s10, v4
	v_cndmask_b32_e64 v2, v3, v2, s[0:1]
	v_fma_f32 v1, v2, v1, v2
	v_cmp_class_f32_e64 s[0:1], v2, s2
	v_trunc_f32_e32 v4, v19
	v_cndmask_b32_e64 v1, v1, v2, s[0:1]
	v_cndmask_b32_e64 v2, v18, 1.0, vcc
	v_cmp_eq_f32_e32 vcc, v4, v19
	v_mul_f32_e32 v4, 0.5, v19
	v_trunc_f32_e32 v6, v4
	v_cmp_neq_f32_e64 s[0:1], v6, v4
	s_and_b64 s[0:1], vcc, s[0:1]
	v_cndmask_b32_e64 v4, 1.0, v2, s[0:1]
	s_brev_b32 s14, -2
	v_mov_b32_e32 v5, 0x7fc00000
	v_bfi_b32 v1, s14, v1, v4
	v_cndmask_b32_e32 v4, v5, v1, vcc
	v_cmp_gt_f32_e32 vcc, 0, v2
	v_cndmask_b32_e32 v1, v1, v4, vcc
	v_cmp_eq_f32_e32 vcc, s3, v20
	v_cmp_eq_f32_e64 s[2:3], 0, v2
	v_cmp_gt_f32_e64 s[10:11], 0, v19
	s_xor_b64 s[10:11], s[10:11], s[2:3]
	v_cndmask_b32_e64 v3, v3, 0, s[10:11]
	v_cndmask_b32_e64 v4, 0, v2, s[0:1]
	v_bfi_b32 v3, s14, v3, v4
	s_or_b64 vcc, vcc, s[2:3]
	v_cndmask_b32_e32 v1, v1, v3, vcc
	v_cmp_o_f32_e32 vcc, v2, v2
	v_cndmask_b32_e32 v214, v5, v1, vcc
.LBB22_2:
	s_load_dwordx2 s[0:1], s[4:5], 0x4
	s_load_dwordx16 s[16:31], s[6:7], 0x0
	v_bfe_u32 v208, v0, 10, 10
	v_and_b32_e32 v203, 0x3ff, v0
	v_bfe_u32 v0, v0, 20, 10
	s_waitcnt lgkmcnt(0)
	s_lshr_b32 s0, s0, 16
	v_mul_u32_u24_e32 v1, s1, v208
	s_mul_i32 s0, s0, s1
	v_mad_u32_u24 v1, s0, v203, v1
	v_add_lshl_u32 v16, v1, v0, 4
	v_mov_b32_e32 v12, 0
	v_add_u32_e32 v0, 0x604, v16
	s_lshl_b32 s33, s8, 1
	ds_write2_b32 v0, v12, v12 offset1:1
	v_add_u32_e32 v0, 0x400, v16
	v_cmp_lt_u32_e64 s[0:1], 1, v208
	v_cmp_gt_u32_e32 vcc, 2, v208
	v_lshlrev_b32_e32 v209, 8, v208
	ds_write2_b32 v0, v12, v12 offset0:128 offset1:131
	s_and_saveexec_b64 s[2:3], vcc
	s_cbranch_execz .LBB22_13
; %bb.3:
	v_or_b32_e32 v0, s33, v208
	v_cmp_le_i32_e32 vcc, s34, v0
	v_lshl_add_u32 v3, v203, 2, v209
	s_and_saveexec_b64 s[4:5], vcc
	s_xor_b64 s[4:5], exec, s[4:5]
	s_cbranch_execz .LBB22_7
; %bb.4:
	v_mov_b32_e32 v0, 0
	v_cmp_gt_u32_e32 vcc, 4, v203
	ds_write_b32 v3, v0
	s_and_saveexec_b64 s[10:11], vcc
	s_cbranch_execz .LBB22_6
; %bb.5:
	v_lshl_add_u32 v2, v203, 2, v3
	v_mov_b32_e32 v1, v0
	ds_write_b64 v2, v[0:1] offset:128
.LBB22_6:
	s_or_b64 exec, exec, s[10:11]
                                        ; implicit-def: $vgpr3
.LBB22_7:
	s_andn2_saveexec_b64 s[4:5], s[4:5]
	s_cbranch_execz .LBB22_13
; %bb.8:
	s_load_dwordx4 s[48:51], s[6:7], 0x70
	s_waitcnt lgkmcnt(0)
	s_mul_i32 s4, s52, s50
	s_mul_i32 s10, s33, s48
	;; [unrolled: 1-line block ×3, first 2 shown]
	s_add_i32 s4, s4, s10
	s_add_i32 s4, s4, s5
	s_ashr_i32 s5, s4, 31
	s_add_u32 s4, s16, s4
	v_mul_lo_u32 v0, v208, s48
	s_addc_u32 s5, s17, s5
	v_ashrrev_i32_e32 v1, 31, v0
	v_mov_b32_e32 v2, s5
	v_add_co_u32_e32 v0, vcc, s4, v0
	v_addc_co_u32_e32 v1, vcc, v2, v1, vcc
	v_lshlrev_b32_e32 v2, 4, v203
	v_add_co_u32_e32 v0, vcc, v0, v2
	v_addc_co_u32_e32 v1, vcc, 0, v1, vcc
	global_load_dwordx4 v[8:11], v[0:1], off
	v_mbcnt_lo_u32_b32 v0, -1, 0
	v_mbcnt_hi_u32_b32 v2, -1, v0
	v_and_b32_e32 v0, 0x60, v2
	v_xor_b32_e32 v1, 4, v2
	v_add_u32_e32 v13, 32, v0
	v_xor_b32_e32 v4, 2, v2
	v_cmp_lt_i32_e32 vcc, v1, v13
	v_cndmask_b32_e32 v0, v2, v1, vcc
	v_cmp_lt_i32_e32 vcc, v4, v13
	v_cndmask_b32_e32 v1, v2, v4, vcc
	v_lshlrev_b32_e32 v4, 2, v0
	v_lshlrev_b32_e32 v14, 2, v1
	v_xor_b32_e32 v5, 1, v2
	v_cmp_lt_i32_e32 vcc, v5, v13
	v_cndmask_b32_e32 v2, v2, v5, vcc
	v_lshlrev_b32_e32 v2, 2, v2
	s_mov_b32 s10, 0x42fe0000
	s_waitcnt vmcnt(0)
	v_mul_f32_e32 v7, s12, v8
	v_mov_b32_e32 v8, v11
	v_pk_mul_f32 v[0:1], v[8:9], s[12:13] op_sel_hi:[1,0]
	v_max_f32_e64 v8, |v7|, |v7|
	v_mul_f32_e32 v6, s12, v10
	v_max_f32_e64 v8, v8, |v1|
	v_max3_f32 v8, v8, |v6|, |v0|
	ds_bpermute_b32 v9, v4, v8
	v_add_f32_e32 v11, v1, v7
	v_fmac_f32_e32 v11, s12, v10
	v_add_f32_e32 v10, v0, v11
	ds_bpermute_b32 v4, v4, v10
	s_waitcnt lgkmcnt(1)
	v_max_f32_e32 v9, v9, v9
	v_max_f32_e32 v8, v8, v9
	ds_bpermute_b32 v9, v14, v8
	s_waitcnt lgkmcnt(1)
	v_add_f32_e32 v4, v10, v4
	ds_bpermute_b32 v5, v14, v4
	s_waitcnt lgkmcnt(1)
	v_max_f32_e32 v9, v9, v9
	v_max_f32_e32 v9, v8, v9
	ds_bpermute_b32 v10, v2, v9
	s_waitcnt lgkmcnt(1)
	v_add_f32_e32 v4, v4, v5
	v_mov_b32_e32 v8, 0
	s_waitcnt lgkmcnt(0)
	v_max_f32_e32 v5, v10, v10
	v_max_f32_e32 v9, v9, v5
	v_div_scale_f32 v10, s[4:5], s10, s10, v9
	v_rcp_f32_e32 v11, v10
	ds_bpermute_b32 v5, v2, v4
	v_div_scale_f32 v2, vcc, v9, s10, v9
	v_fma_f32 v13, -v10, v11, 1.0
	v_fmac_f32_e32 v11, v13, v11
	v_mul_f32_e32 v13, v2, v11
	v_fma_f32 v14, -v10, v13, v2
	v_fmac_f32_e32 v13, v14, v11
	v_fma_f32 v2, -v10, v13, v2
	v_div_fmas_f32 v2, v2, v11, v13
	v_div_fixup_f32 v2, v2, s10, v9
	v_cmp_neq_f32_e32 vcc, 0, v2
	s_and_saveexec_b64 s[4:5], vcc
	s_cbranch_execz .LBB22_10
; %bb.9:
	v_div_scale_f32 v8, s[10:11], v2, v2, v7
	v_rcp_f32_e32 v9, v8
	v_div_scale_f32 v10, vcc, v7, v2, v7
	s_brev_b32 s12, -2
	v_fma_f32 v11, -v8, v9, 1.0
	v_fmac_f32_e32 v9, v11, v9
	v_mul_f32_e32 v11, v10, v9
	v_fma_f32 v13, -v8, v11, v10
	v_fmac_f32_e32 v11, v13, v9
	v_fma_f32 v8, -v8, v11, v10
	v_div_fmas_f32 v8, v8, v9, v11
	v_div_fixup_f32 v7, v8, v2, v7
	v_trunc_f32_e32 v8, v7
	v_sub_f32_e32 v9, v7, v8
	v_cmp_ge_f32_e64 s[10:11], |v9|, 0.5
	v_cndmask_b32_e64 v9, 0, 1.0, s[10:11]
	v_div_scale_f32 v10, s[10:11], v2, v2, v0
	v_rcp_f32_e32 v11, v10
	v_bfi_b32 v7, s12, v9, v7
	v_add_f32_e32 v7, v8, v7
	v_cvt_i32_f32_e32 v7, v7
	v_fma_f32 v8, -v10, v11, 1.0
	v_fmac_f32_e32 v11, v8, v11
	v_div_scale_f32 v8, vcc, v0, v2, v0
	v_mul_f32_e32 v9, v8, v11
	v_fma_f32 v13, -v10, v9, v8
	v_fmac_f32_e32 v9, v13, v11
	v_div_scale_f32 v13, s[10:11], v2, v2, v1
	v_rcp_f32_e32 v14, v13
	v_fma_f32 v8, -v10, v9, v8
	v_div_fmas_f32 v8, v8, v11, v9
	v_div_fixup_f32 v0, v8, v2, v0
	v_fma_f32 v9, -v13, v14, 1.0
	v_fmac_f32_e32 v14, v9, v14
	v_div_scale_f32 v9, vcc, v1, v2, v1
	v_mul_f32_e32 v10, v9, v14
	v_fma_f32 v11, -v13, v10, v9
	v_fmac_f32_e32 v10, v11, v14
	v_div_scale_f32 v11, s[10:11], v2, v2, v6
	v_rcp_f32_e32 v15, v11
	v_fma_f32 v9, -v13, v10, v9
	v_div_fmas_f32 v9, v9, v14, v10
	v_div_fixup_f32 v1, v9, v2, v1
	v_fma_f32 v10, -v11, v15, 1.0
	v_fmac_f32_e32 v15, v10, v15
	v_div_scale_f32 v10, vcc, v6, v2, v6
	v_mul_f32_e32 v13, v10, v15
	v_fma_f32 v14, -v11, v13, v10
	v_fmac_f32_e32 v13, v14, v15
	v_fma_f32 v10, -v11, v13, v10
	v_div_fmas_f32 v10, v10, v15, v13
	v_div_fixup_f32 v6, v10, v2, v6
	v_trunc_f32_e32 v10, v6
	v_sub_f32_e32 v11, v6, v10
	v_trunc_f32_e32 v8, v1
	v_cmp_ge_f32_e64 s[10:11], |v11|, 0.5
	v_sub_f32_e32 v9, v1, v8
	v_cndmask_b32_e64 v11, 0, 1.0, s[10:11]
	v_cmp_ge_f32_e64 s[10:11], |v9|, 0.5
	v_cndmask_b32_e64 v9, 0, 1.0, s[10:11]
	v_bfi_b32 v1, s12, v9, v1
	v_add_f32_e32 v1, v8, v1
	v_trunc_f32_e32 v8, v0
	v_sub_f32_e32 v9, v0, v8
	v_bfi_b32 v6, s12, v11, v6
	v_cmp_ge_f32_e64 s[10:11], |v9|, 0.5
	v_add_f32_e32 v6, v10, v6
	v_cndmask_b32_e64 v9, 0, 1.0, s[10:11]
	v_cvt_i32_f32_e32 v6, v6
	v_bfi_b32 v0, s12, v9, v0
	v_add_f32_e32 v0, v8, v0
	v_cvt_i32_f32_e32 v1, v1
	v_cvt_i32_f32_e32 v0, v0
	v_and_b32_e32 v6, 0xff, v6
	v_lshlrev_b32_e32 v6, 16, v6
	v_mov_b32_e32 v8, 8
	v_lshlrev_b32_sdwa v1, v8, v1 dst_sel:DWORD dst_unused:UNUSED_PAD src0_sel:DWORD src1_sel:BYTE_0
	v_lshl_or_b32 v0, v0, 24, v6
	v_and_b32_e32 v6, 0xff, v7
	v_or3_b32 v8, v0, v1, v6
.LBB22_10:
	s_or_b64 exec, exec, s[4:5]
	v_and_b32_e32 v0, 7, v203
	v_cmp_eq_u32_e32 vcc, 0, v0
	ds_write_b32 v3, v8
	s_and_saveexec_b64 s[4:5], vcc
	s_cbranch_execz .LBB22_12
; %bb.11:
	s_waitcnt lgkmcnt(1)
	v_add_f32_e32 v3, v4, v5
	v_add_u32_e32 v0, v209, v203
	ds_write_b64 v0, v[2:3] offset:128
.LBB22_12:
	s_or_b64 exec, exec, s[4:5]
.LBB22_13:
	s_or_b64 exec, exec, s[2:3]
	v_and_b32_e32 v20, 3, v203
	v_lshlrev_b32_e32 v32, 2, v20
	s_waitcnt lgkmcnt(0)
	s_barrier
	ds_read2_b32 v[34:35], v32 offset1:4
	ds_read2_b32 v[36:37], v32 offset0:8 offset1:12
	ds_read_b128 v[0:3], v12 offset:128
	ds_read_b128 v[4:7], v12 offset:144
	ds_read2_b32 v[38:39], v32 offset0:16 offset1:20
	ds_read2_b32 v[40:41], v32 offset0:24 offset1:28
	ds_read2_b32 v[42:43], v32 offset0:64 offset1:68
	ds_read2_b32 v[44:45], v32 offset0:72 offset1:76
	ds_read2_b32 v[46:47], v32 offset0:80 offset1:84
	ds_read_b128 v[8:11], v12 offset:384
	ds_read_b128 v[12:15], v12 offset:400
	ds_read2_b32 v[48:49], v32 offset0:88 offset1:92
	s_cmp_eq_u64 s[26:27], 0
	s_mov_b32 s37, s46
	s_waitcnt lgkmcnt(0)
	s_barrier
	s_cbranch_scc1 .LBB22_15
; %bb.14:
	s_load_dword s2, s[6:7], 0xd0
	s_mov_b32 s3, 0
	s_waitcnt lgkmcnt(0)
	s_mul_i32 s2, s2, s52
	s_add_i32 s2, s2, s8
	s_lshl_b64 s[2:3], s[2:3], 2
	s_add_u32 s2, s26, s2
	s_addc_u32 s3, s27, s3
	s_load_dword s37, s[2:3], 0x0
.LBB22_15:
	v_add_u32_e32 v212, 0x600, v16
	v_lshlrev_b32_e32 v16, 5, v208
	s_mov_b32 s2, 0xfeffffff
	v_add_u32_e32 v210, v16, v203
	s_lshl_b32 s26, s9, 7
	s_mov_b32 s3, s2
	v_mov_b32_e32 v55, 0
	s_mov_b32 s8, 0
	s_waitcnt lgkmcnt(0)
	s_cmp_ge_i32 s26, s37
	v_pk_mov_b32 v[56:57], s[2:3], s[2:3] op_sel:[0,1]
	v_mbcnt_lo_u32_b32 v215, -1, 0
	v_lshlrev_b32_e32 v213, 2, v203
	v_lshlrev_b32_e32 v211, 1, v210
	v_mov_b32_e32 v54, v55
	s_cbranch_scc1 .LBB22_66
; %bb.16:
	s_sub_i32 s2, 0, s42
	s_load_dwordx2 s[48:49], s[6:7], 0x8c
	s_load_dwordx4 s[12:15], s[6:7], 0x98
	s_sub_i32 s3, 0, s40
	s_mul_i32 s2, s2, s45
	s_mul_i32 s3, s3, s44
	s_mul_hi_u32 s2, s45, s2
	s_mul_hi_u32 s3, s44, s3
	s_abs_i32 s4, s36
	s_add_i32 s45, s45, s2
	s_add_i32 s44, s44, s3
	s_mul_hi_u32 s3, s4, s45
	s_ashr_i32 s10, s36, 31
	s_ashr_i32 s11, s43, 31
	;; [unrolled: 1-line block ×3, first 2 shown]
	s_waitcnt lgkmcnt(0)
	s_mul_i32 s59, s52, s13
	s_mul_i32 s13, s64, s12
	s_xor_b32 s10, s10, s11
	s_mul_i32 s11, s3, s42
	s_mul_hi_u32 s16, s52, s12
	s_add_i32 s59, s59, s13
	s_sub_i32 s4, s4, s11
	s_abs_i32 s2, s52
	s_add_i32 s53, s59, s16
	s_add_i32 s11, s3, 1
	s_sub_i32 s13, s4, s42
	s_cmp_ge_u32 s4, s42
	s_cselect_b32 s3, s11, s3
	s_cselect_b32 s4, s13, s4
	s_add_i32 s11, s3, 1
	s_cmp_ge_u32 s4, s42
	s_cselect_b32 s3, s11, s3
	s_mul_hi_u32 s5, s2, s44
	s_xor_b32 s3, s3, s10
	s_sub_i32 s57, s3, s10
	s_mul_i32 s5, s5, s40
	s_mul_i32 s55, s57, s49
	;; [unrolled: 1-line block ×3, first 2 shown]
	s_sub_i32 s2, s2, s5
	s_ashr_i32 s56, s55, 31
	s_ashr_i32 s58, s57, 31
	s_sub_i32 s3, s2, s40
	s_cmp_ge_u32 s2, s40
	s_cselect_b32 s2, s3, s2
	s_sub_i32 s3, s2, s40
	s_cmp_ge_u32 s2, s40
	s_cselect_b32 s4, s3, s2
	s_load_dwordx2 s[50:51], s[6:7], 0xa8
	s_load_dwordx2 s[2:3], s[6:7], 0xc8
	s_xor_b32 s4, s4, s64
	s_sub_i32 s4, s4, s64
	s_load_dword s10, s[6:7], 0xd4
	s_ashr_i32 s5, s4, 31
	s_waitcnt lgkmcnt(0)
	s_mul_i32 s3, s4, s3
	s_mul_hi_u32 s11, s4, s2
	s_add_i32 s3, s11, s3
	s_mul_i32 s5, s5, s2
	s_mul_i32 s38, s33, s41
	s_add_i32 s13, s3, s5
	s_ashr_i32 s49, s38, 31
	s_cmp_lg_u64 s[22:23], 0
	s_mul_i32 s15, s4, s2
	s_cselect_b64 s[4:5], -1, 0
	s_lshl_b32 s40, s10, 7
	s_cmp_lt_i32 s33, s34
	v_mbcnt_hi_u32_b32 v22, -1, v215
	s_cselect_b64 s[10:11], -1, 0
	v_and_b32_e32 v18, 0x7c, v22
	s_and_b64 s[42:43], s[4:5], s[10:11]
	s_or_b32 s10, s33, 1
	v_add_u32_e32 v19, 4, v18
	v_xor_b32_e32 v18, 2, v22
	s_cmp_lt_i32 s10, s34
	v_cmp_lt_i32_e32 vcc, v18, v19
	v_xor_b32_e32 v21, 1, v22
	s_cselect_b64 s[10:11], -1, 0
	v_cndmask_b32_e32 v18, v22, v18, vcc
	v_cmp_lt_i32_e32 vcc, v21, v19
	s_and_b64 s[44:45], s[4:5], s[10:11]
	s_ashr_i32 s47, s46, 31
	v_cndmask_b32_e32 v19, v22, v21, vcc
	v_and_b32_e32 v21, 0x60, v22
	s_add_u32 s60, s18, s55
	s_mul_i32 s54, s52, s12
	v_add_u32_e32 v23, 32, v21
	v_cmp_eq_u32_e64 s[2:3], 0, v20
	v_cmp_eq_u32_e64 s[4:5], 1, v20
	;; [unrolled: 1-line block ×4, first 2 shown]
	v_xor_b32_e32 v20, 4, v22
	s_addc_u32 s61, s19, s56
	s_mov_b32 s27, s8
	v_cmp_lt_i32_e32 vcc, v20, v23
	v_xor_b32_e32 v21, 8, v22
	s_add_u32 s62, s60, s54
	v_and_b32_e32 v17, 0x7c, v203
	v_cndmask_b32_e32 v20, v22, v20, vcc
	v_cmp_lt_i32_e32 vcc, v21, v23
	v_xor_b32_e32 v26, 16, v22
	s_addc_u32 s63, s61, s53
	s_lshl_b64 s[66:67], s[26:27], 1
	v_add_u32_e32 v17, v16, v17
	v_cndmask_b32_e32 v21, v22, v21, vcc
	v_cmp_lt_i32_e32 vcc, v26, v23
	s_add_u32 s27, s22, s66
	v_add_u32_e32 v24, s46, v17
	v_cndmask_b32_e32 v22, v22, v26, vcc
	v_add_co_u32_e32 v26, vcc, s46, v17
	s_addc_u32 s46, s23, s67
	v_ashrrev_i32_e32 v25, 31, v24
	v_mov_b32_e32 v23, s47
	s_add_u32 s27, s27, s15
	s_mov_b32 s41, s8
	v_addc_co_u32_e32 v27, vcc, 0, v23, vcc
	v_lshlrev_b64 v[24:25], 1, v[24:25]
	s_addc_u32 s65, s46, s13
	v_mov_b32_e32 v23, s65
	v_add_co_u32_e32 v50, vcc, s27, v24
	s_lshl_b64 s[46:47], s[40:41], 1
	v_addc_co_u32_e32 v51, vcc, v23, v25, vcc
	s_add_u32 s15, s15, s66
	v_lshlrev_b64 v[24:25], 1, v[26:27]
	v_bfe_u32 v28, v203, 3, 27
	s_addc_u32 s41, s13, s67
	v_add_co_u32_e32 v52, vcc, s27, v24
	s_add_u32 s13, s22, s15
	v_addc_co_u32_e32 v53, vcc, v23, v25, vcc
	v_mul_hi_u32_u24_e32 v25, 34, v28
	v_mul_u32_u24_e32 v24, 34, v28
	s_mul_i32 s22, s52, s51
	s_mul_i32 s64, s64, s50
	v_mov_b32_e32 v23, s50
	v_mul_lo_u32 v31, v16, s14
	s_addc_u32 s15, s23, s41
	s_add_i32 s27, s22, s64
	v_mad_u64_u32 v[28:29], s[22:23], s52, v23, v[24:25]
	v_ashrrev_i32_e32 v33, 31, v31
	v_add_u32_e32 v27, s27, v29
	v_add_co_u32_e32 v23, vcc, v28, v31
	v_and_b32_e32 v30, 28, v213
	v_addc_co_u32_e32 v24, vcc, v27, v33, vcc
	v_add_co_u32_e32 v29, vcc, v28, v30
	v_addc_co_u32_e32 v30, vcc, 0, v27, vcc
	v_add_co_u32_e32 v25, vcc, v29, v31
	v_addc_co_u32_e32 v26, vcc, v30, v33, vcc
	v_add_u32_e32 v54, s14, v31
	v_mov_b32_e32 v31, s58
	v_add_co_u32_e32 v33, vcc, s57, v28
	v_addc_co_u32_e32 v58, vcc, v27, v31, vcc
	v_ashrrev_i32_e32 v55, 31, v54
	v_add_co_u32_e32 v27, vcc, v33, v54
	v_addc_co_u32_e32 v28, vcc, v58, v55, vcc
	v_add_co_u32_e32 v59, vcc, s57, v29
	v_addc_co_u32_e32 v60, vcc, v30, v31, vcc
	v_add_co_u32_e32 v29, vcc, v59, v54
	v_add_u32_e32 v56, s14, v54
	v_addc_co_u32_e32 v30, vcc, v60, v55, vcc
	v_ashrrev_i32_e32 v57, 31, v56
	v_add_co_u32_e32 v31, vcc, v33, v56
	v_addc_co_u32_e32 v54, vcc, v58, v57, vcc
	v_add_co_u32_e32 v55, vcc, v59, v56
	v_add_u32_e32 v61, s14, v56
	v_addc_co_u32_e32 v56, vcc, v60, v57, vcc
	v_ashrrev_i32_e32 v62, 31, v61
	v_add_co_u32_e32 v57, vcc, v33, v61
	v_addc_co_u32_e32 v79, vcc, v58, v62, vcc
	v_add_co_u32_e32 v80, vcc, v59, v61
	v_add_u32_e32 v63, s14, v61
	v_addc_co_u32_e32 v81, vcc, v60, v62, vcc
	v_ashrrev_i32_e32 v64, 31, v63
	v_add_co_u32_e32 v86, vcc, v33, v63
	v_addc_co_u32_e32 v87, vcc, v58, v64, vcc
	v_add_co_u32_e32 v88, vcc, v59, v63
	v_add_u32_e32 v65, s14, v63
	v_addc_co_u32_e32 v89, vcc, v60, v64, vcc
	v_ashrrev_i32_e32 v61, 31, v65
	v_add_co_u32_e32 v90, vcc, v33, v65
	v_addc_co_u32_e32 v91, vcc, v58, v61, vcc
	v_add_co_u32_e32 v92, vcc, v59, v65
	v_add_u32_e32 v62, s14, v65
	v_addc_co_u32_e32 v93, vcc, v60, v61, vcc
	v_ashrrev_i32_e32 v61, 31, v62
	v_add_co_u32_e32 v94, vcc, v33, v62
	v_addc_co_u32_e32 v95, vcc, v58, v61, vcc
	v_add_co_u32_e32 v96, vcc, v59, v62
	v_add_u32_e32 v63, s14, v62
	v_addc_co_u32_e32 v97, vcc, v60, v61, vcc
	v_ashrrev_i32_e32 v61, 31, v63
	v_add_co_u32_e32 v98, vcc, v33, v63
	v_addc_co_u32_e32 v99, vcc, v58, v61, vcc
	v_add_co_u32_e32 v102, vcc, v59, v63
	v_add_u32_e32 v62, s14, v63
	v_addc_co_u32_e32 v103, vcc, v60, v61, vcc
	v_ashrrev_i32_e32 v61, 31, v62
	v_add_co_u32_e32 v104, vcc, v33, v62
	v_addc_co_u32_e32 v105, vcc, v58, v61, vcc
	v_add_co_u32_e32 v106, vcc, v59, v62
	v_add_u32_e32 v63, s14, v62
	v_addc_co_u32_e32 v107, vcc, v60, v61, vcc
	v_ashrrev_i32_e32 v61, 31, v63
	v_add_co_u32_e32 v110, vcc, v33, v63
	v_addc_co_u32_e32 v111, vcc, v58, v61, vcc
	v_add_co_u32_e32 v112, vcc, v59, v63
	v_addc_co_u32_e32 v113, vcc, v60, v61, vcc
	v_add_u32_e32 v61, 31, v16
	v_mul_lo_u32 v61, s14, v61
	v_add_u32_e32 v62, s14, v63
	v_ashrrev_i32_e32 v63, 31, v61
	v_add_co_u32_e32 v114, vcc, v59, v61
	v_addc_co_u32_e32 v115, vcc, v60, v63, vcc
	v_add_co_u32_e32 v116, vcc, v33, v61
	v_add_u32_e32 v61, 30, v16
	v_addc_co_u32_e32 v117, vcc, v58, v63, vcc
	v_mul_lo_u32 v61, s14, v61
	v_ashrrev_i32_e32 v63, 31, v61
	v_add_co_u32_e32 v118, vcc, v59, v61
	v_addc_co_u32_e32 v119, vcc, v60, v63, vcc
	v_add_co_u32_e32 v120, vcc, v33, v61
	v_add_u32_e32 v61, 29, v16
	v_addc_co_u32_e32 v121, vcc, v58, v63, vcc
	v_mul_lo_u32 v61, s14, v61
	;; [unrolled: 7-line block ×12, first 2 shown]
	v_ashrrev_i32_e32 v63, 31, v61
	v_add_co_u32_e32 v162, vcc, v59, v61
	v_addc_co_u32_e32 v163, vcc, v60, v63, vcc
	v_add_co_u32_e32 v164, vcc, v33, v61
	v_add_u32_e32 v61, s14, v62
	v_addc_co_u32_e32 v165, vcc, v58, v63, vcc
	v_add_u32_e32 v63, s14, v61
	v_add_u32_e32 v64, s14, v63
	;; [unrolled: 1-line block ×7, first 2 shown]
	v_ashrrev_i32_e32 v70, 31, v69
	v_add_co_u32_e32 v166, vcc, v59, v69
	v_addc_co_u32_e32 v167, vcc, v60, v70, vcc
	v_add_co_u32_e32 v168, vcc, v33, v69
	v_addc_co_u32_e32 v169, vcc, v58, v70, vcc
	v_ashrrev_i32_e32 v69, 31, v68
	v_add_co_u32_e32 v170, vcc, v59, v68
	v_addc_co_u32_e32 v171, vcc, v60, v69, vcc
	v_add_co_u32_e32 v172, vcc, v33, v68
	v_addc_co_u32_e32 v173, vcc, v58, v69, vcc
	;; [unrolled: 5-line block ×8, first 2 shown]
	v_ashrrev_i32_e32 v67, 31, v62
	v_add_co_u32_e32 v198, vcc, v59, v62
	v_addc_co_u32_e32 v199, vcc, v60, v67, vcc
	v_mul_lo_u32 v108, v17, s48
	v_add_co_u32_e32 v200, vcc, v33, v62
	v_add_u32_e32 v84, s48, v108
	v_addc_co_u32_e32 v201, vcc, v58, v67, vcc
	v_mov_b32_e32 v33, 0
	v_add_u32_e32 v68, s48, v84
	v_mov_b32_e32 v58, s12
	v_add_u32_e32 v60, s48, v68
	v_mad_u64_u32 v[82:83], s[22:23], s52, v58, v[32:33]
	v_add_u32_e32 v83, s59, v83
	v_lshlrev_b32_e32 v216, 2, v18
	v_lshlrev_b32_e32 v221, 1, v16
	v_ashrrev_i32_e32 v16, 31, v60
	v_add_co_u32_e32 v18, vcc, v82, v60
	v_lshlrev_b32_e32 v217, 2, v19
	v_addc_co_u32_e32 v19, vcc, v83, v16, vcc
	v_lshlrev_b32_e32 v218, 2, v20
	v_mov_b32_e32 v20, s61
	v_add_co_u32_e32 v58, vcc, s60, v18
	v_addc_co_u32_e32 v59, vcc, v20, v19, vcc
	v_mov_b32_e32 v18, s63
	v_add_co_u32_e32 v60, vcc, s62, v60
	s_add_u32 s12, s20, s57
	s_mul_i32 s22, s26, s14
	s_mul_i32 s50, s40, s14
	v_addc_co_u32_e32 v61, vcc, v18, v16, vcc
	s_addc_u32 s14, s21, s58
	v_lshlrev_b32_e32 v16, 1, v17
	v_mov_b32_e32 v17, s14
	v_add_co_u32_e32 v62, vcc, s12, v23
	v_addc_co_u32_e32 v63, vcc, v17, v24, vcc
	v_add_co_u32_e32 v64, vcc, s12, v25
	v_addc_co_u32_e32 v65, vcc, v17, v26, vcc
	v_ashrrev_i32_e32 v17, 31, v68
	v_add_co_u32_e32 v18, vcc, v82, v68
	v_addc_co_u32_e32 v19, vcc, v83, v17, vcc
	v_add_co_u32_e32 v66, vcc, s60, v18
	v_addc_co_u32_e32 v67, vcc, v20, v19, vcc
	v_mov_b32_e32 v18, s63
	v_add_co_u32_e32 v68, vcc, s62, v68
	v_addc_co_u32_e32 v69, vcc, v18, v17, vcc
	v_mov_b32_e32 v17, s21
	v_add_co_u32_e32 v70, vcc, s20, v27
	v_addc_co_u32_e32 v71, vcc, v17, v28, vcc
	v_add_co_u32_e32 v72, vcc, s20, v29
	v_addc_co_u32_e32 v73, vcc, v17, v30, vcc
	;; [unrolled: 2-line block ×6, first 2 shown]
	v_mov_b32_e32 v17, s56
	v_add_co_u32_e32 v18, vcc, s55, v82
	v_addc_co_u32_e32 v17, vcc, v83, v17, vcc
	v_ashrrev_i32_e32 v19, 31, v84
	v_add_co_u32_e32 v20, vcc, v82, v84
	v_lshlrev_b32_e32 v219, 2, v21
	v_addc_co_u32_e32 v21, vcc, v83, v19, vcc
	v_lshlrev_b32_e32 v220, 2, v22
	v_mov_b32_e32 v22, s61
	v_add_co_u32_e32 v82, vcc, s60, v20
	v_addc_co_u32_e32 v83, vcc, v22, v21, vcc
	v_mov_b32_e32 v20, s63
	v_add_co_u32_e32 v84, vcc, s62, v84
	v_addc_co_u32_e32 v85, vcc, v20, v19, vcc
	;; [unrolled: 3-line block ×3, first 2 shown]
	v_add_co_u32_e32 v88, vcc, s20, v88
	v_addc_co_u32_e32 v89, vcc, v19, v89, vcc
	v_add_co_u32_e32 v90, vcc, s20, v90
	v_addc_co_u32_e32 v91, vcc, v19, v91, vcc
	;; [unrolled: 2-line block ×6, first 2 shown]
	v_ashrrev_i32_e32 v19, 31, v108
	v_add_co_u32_e32 v18, vcc, v18, v108
	v_addc_co_u32_e32 v17, vcc, v17, v19, vcc
	v_mov_b32_e32 v20, s19
	v_add_co_u32_e32 v100, vcc, s18, v18
	v_addc_co_u32_e32 v101, vcc, v20, v17, vcc
	v_mov_b32_e32 v17, s21
	v_add_co_u32_e32 v102, vcc, s20, v102
	v_addc_co_u32_e32 v103, vcc, v17, v103, vcc
	v_add_co_u32_e32 v104, vcc, s20, v104
	s_add_u32 s12, s54, s55
	v_addc_co_u32_e32 v105, vcc, v17, v105, vcc
	s_addc_u32 s14, s53, s56
	v_add_co_u32_e32 v106, vcc, s20, v106
	s_add_u32 s12, s18, s12
	v_addc_co_u32_e32 v107, vcc, v17, v107, vcc
	s_addc_u32 s14, s19, s14
	v_mov_b32_e32 v17, s14
	v_add_co_u32_e32 v108, vcc, s12, v108
	v_addc_co_u32_e32 v109, vcc, v17, v19, vcc
	v_mov_b32_e32 v17, s21
	v_add_co_u32_e32 v110, vcc, s20, v110
	v_addc_co_u32_e32 v111, vcc, v17, v111, vcc
	v_add_co_u32_e32 v112, vcc, s20, v112
	v_addc_co_u32_e32 v113, vcc, v17, v113, vcc
	;; [unrolled: 2-line block ×46, first 2 shown]
	v_mov_b32_e32 v56, 0xfeffffff
	v_add_f32_e32 v222, v1, v1
	v_mov_b32_e32 v1, s15
	v_add_co_u32_e32 v202, vcc, s13, v16
	s_mul_i32 s23, s26, s48
	s_mov_b32 s27, s8
	s_mul_i32 s41, s40, s48
	s_mov_b32 s48, s8
	s_mov_b32 s51, s8
	;; [unrolled: 1-line block ×7, first 2 shown]
	s_brev_b32 s58, -2
	v_mov_b32_e32 v54, v33
	v_mov_b32_e32 v55, v33
	v_mov_b32_e32 v57, v56
	v_or_b32_e32 v33, 16, v32
	v_add_f32_e32 v3, v3, v3
	v_add_f32_e32 v5, v5, v5
	v_add_f32_e32 v7, v7, v7
	v_add_f32_e32 v9, v9, v9
	v_add_f32_e32 v11, v11, v11
	v_add_f32_e32 v13, v13, v13
	v_add_f32_e32 v15, v15, v15
	v_addc_co_u32_e32 v1, vcc, 0, v1, vcc
	v_mov_b32_e32 v223, 0xbd5c1c4e
	v_mov_b32_e32 v224, 0x3e088382
	;; [unrolled: 1-line block ×4, first 2 shown]
                                        ; implicit-def: $vgpr204
	s_branch .LBB22_18
.LBB22_17:                              ;   in Loop: Header=BB22_18 Depth=1
	v_add_f32_e32 v23, 0x40051340, v16
	v_add_f32_e32 v24, 0x40051340, v18
	v_max3_f32 v23, v56, v23, v24
	v_add_f32_e32 v24, 0x40051340, v20
	v_add_f32_e32 v25, 0x40051340, v31
	v_max3_f32 v23, v23, v24, v25
	v_cndmask_b32_e64 v24, v204, v16, s[2:3]
	v_cndmask_b32_e64 v25, v205, v17, s[2:3]
	v_add_f32_e32 v16, 0x40051340, v17
	v_add_f32_e32 v17, 0x40051340, v19
	v_max3_f32 v26, v57, v16, v17
	v_add_f32_e32 v27, 0x40051340, v21
	v_add_f32_e32 v28, 0x40051340, v22
	v_max3_f32 v26, v26, v27, v28
	v_cndmask_b32_e64 v18, v24, v18, s[4:5]
	v_cndmask_b32_e64 v18, v18, v20, s[16:17]
	ds_bpermute_b32 v20, v218, v26
	v_cndmask_b32_e64 v19, v25, v19, s[4:5]
	v_cndmask_b32_e64 v19, v19, v21, s[16:17]
	ds_bpermute_b32 v21, v218, v23
	v_cndmask_b32_e64 v19, v19, v22, s[10:11]
	s_waitcnt lgkmcnt(1)
	v_max_f32_e32 v20, v20, v20
	v_max_f32_e32 v20, v26, v20
	ds_bpermute_b32 v22, v219, v20
	s_waitcnt lgkmcnt(1)
	v_max_f32_e32 v21, v21, v21
	v_max_f32_e32 v21, v23, v21
	v_mov_b32_e32 v17, v57
	v_mov_b32_e32 v16, v56
	s_waitcnt lgkmcnt(0)
	v_max_f32_e32 v22, v22, v22
	v_max_f32_e32 v20, v20, v22
	ds_bpermute_b32 v22, v219, v21
	v_cndmask_b32_e64 v18, v18, v31, s[10:11]
	v_mov_b32_e32 v227, s8
	s_add_i32 s26, s26, s40
	s_cmp_ge_i32 s26, s37
	s_waitcnt lgkmcnt(0)
	v_max_f32_e32 v22, v22, v22
	v_max_f32_e32 v21, v21, v22
	ds_bpermute_b32 v22, v220, v20
	s_waitcnt lgkmcnt(0)
	v_max_f32_e32 v22, v22, v22
	v_max_f32_e32 v57, v20, v22
	ds_bpermute_b32 v20, v220, v21
	s_waitcnt lgkmcnt(0)
	v_max_f32_e32 v20, v20, v20
	v_max_f32_e32 v56, v21, v20
	v_pk_add_f32 v[18:19], v[18:19], v[56:57] neg_lo:[0,1] neg_hi:[0,1]
	v_mul_f32_e32 v20, 0x3fb8aa3b, v19
	v_fma_f32 v21, v19, s55, -v20
	v_rndne_f32_e32 v22, v20
	v_fmac_f32_e32 v21, 0x32a5705f, v19
	v_sub_f32_e32 v20, v20, v22
	v_add_f32_e32 v20, v20, v21
	v_exp_f32_e32 v20, v20
	v_cvt_i32_f32_e32 v21, v22
	v_cmp_ngt_f32_e32 vcc, s56, v19
	v_cmp_ngt_f32_e64 s[12:13], s56, v18
	v_pk_add_f32 v[16:17], v[16:17], v[56:57] neg_lo:[0,1] neg_hi:[0,1]
	v_ldexp_f32 v20, v20, v21
	v_mul_f32_e32 v21, 0x3fb8aa3b, v18
	v_fma_f32 v22, v18, s55, -v21
	v_rndne_f32_e32 v23, v21
	v_fmac_f32_e32 v22, 0x32a5705f, v18
	v_sub_f32_e32 v21, v21, v23
	v_add_f32_e32 v21, v21, v22
	v_exp_f32_e32 v21, v21
	v_cvt_i32_f32_e32 v22, v23
	v_cndmask_b32_e32 v20, 0, v20, vcc
	v_cmp_nlt_f32_e32 vcc, s57, v19
	v_cmp_ngt_f32_e64 s[18:19], s56, v16
	v_ldexp_f32 v21, v21, v22
	v_cndmask_b32_e64 v19, 0, v21, s[12:13]
	v_cmp_nlt_f32_e64 s[12:13], s57, v18
	v_mul_f32_e32 v18, 0x3fb8aa3b, v17
	v_fma_f32 v21, v17, s55, -v18
	v_rndne_f32_e32 v22, v18
	v_fmac_f32_e32 v21, 0x32a5705f, v17
	v_sub_f32_e32 v18, v18, v22
	v_add_f32_e32 v18, v18, v21
	v_exp_f32_e32 v18, v18
	v_cvt_i32_f32_e32 v21, v22
	v_cmp_ngt_f32_e64 s[14:15], s56, v17
	v_cndmask_b32_e64 v204, v226, v19, s[12:13]
	v_cndmask_b32_e32 v205, v226, v20, vcc
	v_ldexp_f32 v18, v18, v21
	v_mul_f32_e32 v21, 0x3fb8aa3b, v16
	v_fma_f32 v22, v16, s55, -v21
	v_rndne_f32_e32 v23, v21
	v_fmac_f32_e32 v22, 0x32a5705f, v16
	v_sub_f32_e32 v21, v21, v23
	v_add_f32_e32 v21, v21, v22
	v_exp_f32_e32 v21, v21
	v_cvt_i32_f32_e32 v22, v23
	v_cndmask_b32_e64 v18, 0, v18, s[14:15]
	v_cmp_nlt_f32_e64 s[14:15], s57, v17
	v_cndmask_b32_e64 v207, v226, v18, s[14:15]
	v_ldexp_f32 v21, v21, v22
	v_cndmask_b32_e64 v21, 0, v21, s[18:19]
	v_cmp_nlt_f32_e64 s[18:19], s57, v16
	v_add_co_u32_e64 v16, s[20:21], s22, v64
	v_addc_co_u32_e64 v17, s[20:21], v65, v227, s[20:21]
	global_load_dword v22, v[16:17], off offset:2
	v_add_co_u32_e64 v16, s[20:21], s22, v62
	v_addc_co_u32_e64 v17, s[20:21], v63, v227, s[20:21]
	global_load_ushort v16, v[16:17], off
	v_cvt_f16_f32_e32 v17, v204
	v_cndmask_b32_e64 v206, v226, v21, s[18:19]
	v_cvt_f16_f32_e32 v20, v206
	v_pk_fma_f32 v[54:55], v[54:55], v[206:207], v[204:205]
	ds_write_b16 v211, v17
	v_cvt_f16_f32_e32 v17, v205
	ds_write_b16 v211, v17 offset:256
	s_waitcnt vmcnt(1)
	v_cvt_f16_i16_sdwa v17, sext(v22) dst_sel:DWORD dst_unused:UNUSED_PAD src0_sel:BYTE_0
	v_cvt_f16_i16_sdwa v18, sext(v22) dst_sel:DWORD dst_unused:UNUSED_PAD src0_sel:BYTE_1
	v_pack_b32_f16 v17, v17, v18
	v_lshrrev_b32_e32 v18, 16, v22
	v_cvt_f16_i16_sdwa v19, sext(v18) dst_sel:DWORD dst_unused:UNUSED_PAD src0_sel:BYTE_0
	v_cvt_f16_i16_sdwa v18, sext(v18) dst_sel:DWORD dst_unused:UNUSED_PAD src0_sel:BYTE_1
	v_pack_b32_f16 v18, v19, v18
	s_waitcnt vmcnt(0)
	v_pk_mul_f16 v232, v17, v16 op_sel_hi:[1,0]
	v_pk_mul_f16 v233, v16, v18 op_sel_hi:[0,1]
	ds_read_b128 v[28:31], v221
	ds_read_b128 v[16:19], v221 offset:16
	ds_read_b128 v[228:231], v212
	s_waitcnt lgkmcnt(2)
	v_pk_mul_f16 v21, v232, v28 op_sel_hi:[1,0]
	s_waitcnt lgkmcnt(0)
	v_pk_fma_f16 v234, v20, v228, v21 op_sel_hi:[0,1,1]
	v_pk_mul_f16 v21, v233, v28 op_sel_hi:[1,0]
	v_pk_fma_f16 v235, v20, v229, v21 op_sel_hi:[0,1,1]
	ds_read_b128 v[24:27], v221 offset:256
	ds_read_b128 v[20:23], v221 offset:272
	v_cvt_f16_f32_e32 v229, v207
	s_waitcnt lgkmcnt(1)
	v_pk_mul_f16 v228, v232, v24 op_sel_hi:[1,0]
	v_pk_fma_f16 v230, v229, v230, v228 op_sel_hi:[0,1,1]
	v_pk_mul_f16 v228, v233, v24 op_sel_hi:[1,0]
	v_pk_fma_f16 v231, v229, v231, v228 op_sel_hi:[0,1,1]
	v_add_co_u32_e32 v228, vcc, s22, v72
	v_addc_co_u32_e32 v229, vcc, v73, v227, vcc
	global_load_dword v232, v[228:229], off offset:2
	v_add_co_u32_e32 v228, vcc, s22, v70
	v_addc_co_u32_e32 v229, vcc, v71, v227, vcc
	global_load_ushort v233, v[228:229], off
	v_add_co_u32_e32 v228, vcc, s22, v76
	v_addc_co_u32_e32 v229, vcc, v77, v227, vcc
	global_load_dword v236, v[228:229], off offset:2
	v_add_co_u32_e32 v228, vcc, s22, v74
	v_addc_co_u32_e32 v229, vcc, v75, v227, vcc
	global_load_ushort v237, v[228:229], off
	;; [unrolled: 6-line block ×7, first 2 shown]
	s_waitcnt vmcnt(13)
	v_cvt_f16_i16_sdwa v229, sext(v232) dst_sel:DWORD dst_unused:UNUSED_PAD src0_sel:BYTE_0
	v_cvt_f16_i16_sdwa v247, sext(v232) dst_sel:DWORD dst_unused:UNUSED_PAD src0_sel:BYTE_1
	v_lshrrev_b32_e32 v232, 16, v232
	v_pack_b32_f16 v229, v229, v247
	v_cvt_f16_i16_sdwa v247, sext(v232) dst_sel:DWORD dst_unused:UNUSED_PAD src0_sel:BYTE_0
	v_cvt_f16_i16_sdwa v232, sext(v232) dst_sel:DWORD dst_unused:UNUSED_PAD src0_sel:BYTE_1
	v_pack_b32_f16 v232, v247, v232
	s_waitcnt vmcnt(12)
	v_pk_mul_f16 v229, v229, v233 op_sel_hi:[1,0]
	v_pk_mul_f16 v232, v233, v232 op_sel_hi:[0,1]
	v_pk_fma_f16 v234, v229, v28, v234 op_sel:[0,1,0]
	s_waitcnt vmcnt(11)
	v_cvt_f16_i16_sdwa v233, sext(v236) dst_sel:DWORD dst_unused:UNUSED_PAD src0_sel:BYTE_0
	v_cvt_f16_i16_sdwa v247, sext(v236) dst_sel:DWORD dst_unused:UNUSED_PAD src0_sel:BYTE_1
	v_lshrrev_b32_e32 v236, 16, v236
	v_pack_b32_f16 v233, v233, v247
	v_cvt_f16_i16_sdwa v247, sext(v236) dst_sel:DWORD dst_unused:UNUSED_PAD src0_sel:BYTE_0
	v_cvt_f16_i16_sdwa v236, sext(v236) dst_sel:DWORD dst_unused:UNUSED_PAD src0_sel:BYTE_1
	v_pack_b32_f16 v236, v247, v236
	s_waitcnt vmcnt(10)
	v_pk_mul_f16 v233, v233, v237 op_sel_hi:[1,0]
	v_pk_mul_f16 v236, v237, v236 op_sel_hi:[0,1]
	v_pk_fma_f16 v28, v232, v28, v235 op_sel:[0,1,0]
	s_waitcnt vmcnt(9)
	v_cvt_f16_i16_sdwa v237, sext(v238) dst_sel:DWORD dst_unused:UNUSED_PAD src0_sel:BYTE_0
	v_cvt_f16_i16_sdwa v247, sext(v238) dst_sel:DWORD dst_unused:UNUSED_PAD src0_sel:BYTE_1
	v_lshrrev_b32_e32 v238, 16, v238
	v_pack_b32_f16 v237, v237, v247
	v_cvt_f16_i16_sdwa v247, sext(v238) dst_sel:DWORD dst_unused:UNUSED_PAD src0_sel:BYTE_0
	v_cvt_f16_i16_sdwa v238, sext(v238) dst_sel:DWORD dst_unused:UNUSED_PAD src0_sel:BYTE_1
	v_pack_b32_f16 v238, v247, v238
	s_waitcnt vmcnt(8)
	v_pk_mul_f16 v237, v237, v239 op_sel_hi:[1,0]
	v_pk_mul_f16 v238, v239, v238 op_sel_hi:[0,1]
	v_pk_fma_f16 v234, v233, v29, v234 op_sel_hi:[1,0,1]
	s_waitcnt vmcnt(7)
	v_cvt_f16_i16_sdwa v239, sext(v240) dst_sel:DWORD dst_unused:UNUSED_PAD src0_sel:BYTE_0
	v_cvt_f16_i16_sdwa v247, sext(v240) dst_sel:DWORD dst_unused:UNUSED_PAD src0_sel:BYTE_1
	v_lshrrev_b32_e32 v240, 16, v240
	v_pack_b32_f16 v239, v239, v247
	v_cvt_f16_i16_sdwa v247, sext(v240) dst_sel:DWORD dst_unused:UNUSED_PAD src0_sel:BYTE_0
	v_cvt_f16_i16_sdwa v240, sext(v240) dst_sel:DWORD dst_unused:UNUSED_PAD src0_sel:BYTE_1
	v_pack_b32_f16 v240, v247, v240
	s_waitcnt vmcnt(6)
	v_pk_mul_f16 v239, v239, v241 op_sel_hi:[1,0]
	v_pk_mul_f16 v240, v241, v240 op_sel_hi:[0,1]
	v_pk_fma_f16 v28, v236, v29, v28 op_sel_hi:[1,0,1]
	s_waitcnt vmcnt(5)
	v_cvt_f16_i16_sdwa v241, sext(v242) dst_sel:DWORD dst_unused:UNUSED_PAD src0_sel:BYTE_0
	v_cvt_f16_i16_sdwa v247, sext(v242) dst_sel:DWORD dst_unused:UNUSED_PAD src0_sel:BYTE_1
	v_lshrrev_b32_e32 v242, 16, v242
	v_pack_b32_f16 v241, v241, v247
	v_cvt_f16_i16_sdwa v247, sext(v242) dst_sel:DWORD dst_unused:UNUSED_PAD src0_sel:BYTE_0
	v_cvt_f16_i16_sdwa v242, sext(v242) dst_sel:DWORD dst_unused:UNUSED_PAD src0_sel:BYTE_1
	v_pack_b32_f16 v242, v247, v242
	v_pk_fma_f16 v234, v237, v29, v234 op_sel:[0,1,0]
	v_pk_fma_f16 v28, v238, v29, v28 op_sel:[0,1,0]
	s_waitcnt vmcnt(4)
	v_pk_mul_f16 v241, v241, v243 op_sel_hi:[1,0]
	v_pk_mul_f16 v242, v243, v242 op_sel_hi:[0,1]
	s_waitcnt vmcnt(3)
	v_cvt_f16_i16_sdwa v243, sext(v244) dst_sel:DWORD dst_unused:UNUSED_PAD src0_sel:BYTE_0
	v_cvt_f16_i16_sdwa v247, sext(v244) dst_sel:DWORD dst_unused:UNUSED_PAD src0_sel:BYTE_1
	v_lshrrev_b32_e32 v244, 16, v244
	v_pk_fma_f16 v29, v239, v30, v234 op_sel_hi:[1,0,1]
	v_pk_fma_f16 v28, v240, v30, v28 op_sel_hi:[1,0,1]
	v_pack_b32_f16 v243, v243, v247
	v_cvt_f16_i16_sdwa v247, sext(v244) dst_sel:DWORD dst_unused:UNUSED_PAD src0_sel:BYTE_0
	v_cvt_f16_i16_sdwa v244, sext(v244) dst_sel:DWORD dst_unused:UNUSED_PAD src0_sel:BYTE_1
	v_pk_fma_f16 v29, v241, v30, v29 op_sel:[0,1,0]
	v_pk_fma_f16 v28, v242, v30, v28 op_sel:[0,1,0]
	;; [unrolled: 1-line block ×4, first 2 shown]
	v_pack_b32_f16 v244, v247, v244
	v_pk_fma_f16 v30, v233, v25, v30 op_sel_hi:[1,0,1]
	v_pk_fma_f16 v24, v236, v25, v24 op_sel_hi:[1,0,1]
	s_waitcnt vmcnt(2)
	v_pk_mul_f16 v243, v243, v245 op_sel_hi:[1,0]
	v_pk_mul_f16 v244, v245, v244 op_sel_hi:[0,1]
	s_waitcnt vmcnt(1)
	v_cvt_f16_i16_sdwa v245, sext(v246) dst_sel:DWORD dst_unused:UNUSED_PAD src0_sel:BYTE_0
	v_cvt_f16_i16_sdwa v247, sext(v246) dst_sel:DWORD dst_unused:UNUSED_PAD src0_sel:BYTE_1
	v_lshrrev_b32_e32 v246, 16, v246
	v_pk_fma_f16 v30, v237, v25, v30 op_sel:[0,1,0]
	v_pk_fma_f16 v24, v238, v25, v24 op_sel:[0,1,0]
	v_pack_b32_f16 v245, v245, v247
	v_cvt_f16_i16_sdwa v247, sext(v246) dst_sel:DWORD dst_unused:UNUSED_PAD src0_sel:BYTE_0
	v_cvt_f16_i16_sdwa v246, sext(v246) dst_sel:DWORD dst_unused:UNUSED_PAD src0_sel:BYTE_1
	v_pk_fma_f16 v25, v239, v26, v30 op_sel_hi:[1,0,1]
	v_pk_fma_f16 v24, v240, v26, v24 op_sel_hi:[1,0,1]
	v_pack_b32_f16 v246, v247, v246
	v_pk_fma_f16 v25, v241, v26, v25 op_sel:[0,1,0]
	v_pk_fma_f16 v24, v242, v26, v24 op_sel:[0,1,0]
	s_waitcnt vmcnt(0)
	v_pk_mul_f16 v245, v245, v228 op_sel_hi:[1,0]
	v_pk_mul_f16 v228, v228, v246 op_sel_hi:[0,1]
	v_pk_fma_f16 v25, v243, v27, v25 op_sel_hi:[1,0,1]
	v_pk_fma_f16 v24, v244, v27, v24 op_sel_hi:[1,0,1]
	v_pk_fma_f16 v26, v245, v27, v25 op_sel:[0,1,0]
	v_pk_fma_f16 v27, v228, v27, v24 op_sel:[0,1,0]
	v_add_co_u32_e32 v24, vcc, s22, v106
	v_addc_co_u32_e32 v25, vcc, v107, v227, vcc
	global_load_dword v30, v[24:25], off offset:2
	v_add_co_u32_e32 v24, vcc, s22, v104
	v_pk_fma_f16 v29, v243, v31, v29 op_sel_hi:[1,0,1]
	v_pk_fma_f16 v28, v244, v31, v28 op_sel_hi:[1,0,1]
	v_addc_co_u32_e32 v25, vcc, v105, v227, vcc
	v_pk_fma_f16 v29, v245, v31, v29 op_sel:[0,1,0]
	v_pk_fma_f16 v28, v228, v31, v28 op_sel:[0,1,0]
	global_load_ushort v31, v[24:25], off
	v_add_co_u32_e32 v24, vcc, s22, v112
	v_addc_co_u32_e32 v25, vcc, v113, v227, vcc
	global_load_dword v228, v[24:25], off offset:2
	v_add_co_u32_e32 v24, vcc, s22, v110
	v_addc_co_u32_e32 v25, vcc, v111, v227, vcc
	global_load_ushort v229, v[24:25], off
	v_add_co_u32_e32 v24, vcc, s22, v198
	v_addc_co_u32_e32 v25, vcc, v199, v227, vcc
	global_load_dword v230, v[24:25], off offset:2
	v_add_co_u32_e32 v24, vcc, s22, v200
	v_addc_co_u32_e32 v25, vcc, v201, v227, vcc
	;; [unrolled: 6-line block ×7, first 2 shown]
	global_load_ushort v24, v[24:25], off
	s_waitcnt vmcnt(15)
	v_cvt_f16_i16_sdwa v25, sext(v30) dst_sel:DWORD dst_unused:UNUSED_PAD src0_sel:BYTE_0
	v_cvt_f16_i16_sdwa v241, sext(v30) dst_sel:DWORD dst_unused:UNUSED_PAD src0_sel:BYTE_1
	v_lshrrev_b32_e32 v30, 16, v30
	v_pack_b32_f16 v25, v25, v241
	v_cvt_f16_i16_sdwa v241, sext(v30) dst_sel:DWORD dst_unused:UNUSED_PAD src0_sel:BYTE_0
	v_cvt_f16_i16_sdwa v30, sext(v30) dst_sel:DWORD dst_unused:UNUSED_PAD src0_sel:BYTE_1
	v_pack_b32_f16 v30, v241, v30
	s_waitcnt vmcnt(14)
	v_pk_mul_f16 v25, v25, v31 op_sel_hi:[1,0]
	v_pk_mul_f16 v30, v31, v30 op_sel_hi:[0,1]
	v_pk_fma_f16 v29, v25, v16, v29 op_sel_hi:[1,0,1]
	v_pk_fma_f16 v28, v30, v16, v28 op_sel_hi:[1,0,1]
	s_waitcnt vmcnt(13)
	v_cvt_f16_i16_sdwa v31, sext(v228) dst_sel:DWORD dst_unused:UNUSED_PAD src0_sel:BYTE_0
	v_cvt_f16_i16_sdwa v241, sext(v228) dst_sel:DWORD dst_unused:UNUSED_PAD src0_sel:BYTE_1
	v_lshrrev_b32_e32 v228, 16, v228
	v_pack_b32_f16 v31, v31, v241
	v_cvt_f16_i16_sdwa v241, sext(v228) dst_sel:DWORD dst_unused:UNUSED_PAD src0_sel:BYTE_0
	v_cvt_f16_i16_sdwa v228, sext(v228) dst_sel:DWORD dst_unused:UNUSED_PAD src0_sel:BYTE_1
	v_pack_b32_f16 v228, v241, v228
	s_waitcnt vmcnt(12)
	v_pk_mul_f16 v31, v31, v229 op_sel_hi:[1,0]
	v_pk_mul_f16 v228, v229, v228 op_sel_hi:[0,1]
	v_pk_fma_f16 v29, v31, v16, v29 op_sel:[0,1,0]
	s_waitcnt vmcnt(11)
	v_cvt_f16_i16_sdwa v229, sext(v230) dst_sel:DWORD dst_unused:UNUSED_PAD src0_sel:BYTE_0
	v_cvt_f16_i16_sdwa v241, sext(v230) dst_sel:DWORD dst_unused:UNUSED_PAD src0_sel:BYTE_1
	v_lshrrev_b32_e32 v230, 16, v230
	v_pack_b32_f16 v229, v229, v241
	v_cvt_f16_i16_sdwa v241, sext(v230) dst_sel:DWORD dst_unused:UNUSED_PAD src0_sel:BYTE_0
	v_cvt_f16_i16_sdwa v230, sext(v230) dst_sel:DWORD dst_unused:UNUSED_PAD src0_sel:BYTE_1
	v_pack_b32_f16 v230, v241, v230
	s_waitcnt vmcnt(10)
	v_pk_mul_f16 v229, v229, v231 op_sel_hi:[1,0]
	v_pk_mul_f16 v230, v231, v230 op_sel_hi:[0,1]
	v_pk_fma_f16 v16, v228, v16, v28 op_sel:[0,1,0]
	s_waitcnt vmcnt(9)
	v_cvt_f16_i16_sdwa v231, sext(v232) dst_sel:DWORD dst_unused:UNUSED_PAD src0_sel:BYTE_0
	v_cvt_f16_i16_sdwa v241, sext(v232) dst_sel:DWORD dst_unused:UNUSED_PAD src0_sel:BYTE_1
	v_lshrrev_b32_e32 v232, 16, v232
	v_pack_b32_f16 v231, v231, v241
	v_cvt_f16_i16_sdwa v241, sext(v232) dst_sel:DWORD dst_unused:UNUSED_PAD src0_sel:BYTE_0
	v_cvt_f16_i16_sdwa v232, sext(v232) dst_sel:DWORD dst_unused:UNUSED_PAD src0_sel:BYTE_1
	v_pack_b32_f16 v232, v241, v232
	s_waitcnt vmcnt(8)
	v_pk_mul_f16 v231, v231, v233 op_sel_hi:[1,0]
	v_pk_mul_f16 v232, v233, v232 op_sel_hi:[0,1]
	v_pk_fma_f16 v16, v230, v17, v16 op_sel_hi:[1,0,1]
	s_waitcnt vmcnt(7)
	v_cvt_f16_i16_sdwa v233, sext(v234) dst_sel:DWORD dst_unused:UNUSED_PAD src0_sel:BYTE_0
	v_cvt_f16_i16_sdwa v241, sext(v234) dst_sel:DWORD dst_unused:UNUSED_PAD src0_sel:BYTE_1
	v_lshrrev_b32_e32 v234, 16, v234
	v_pack_b32_f16 v233, v233, v241
	v_cvt_f16_i16_sdwa v241, sext(v234) dst_sel:DWORD dst_unused:UNUSED_PAD src0_sel:BYTE_0
	v_cvt_f16_i16_sdwa v234, sext(v234) dst_sel:DWORD dst_unused:UNUSED_PAD src0_sel:BYTE_1
	v_pack_b32_f16 v234, v241, v234
	s_waitcnt vmcnt(6)
	v_pk_mul_f16 v233, v233, v235 op_sel_hi:[1,0]
	v_pk_mul_f16 v234, v235, v234 op_sel_hi:[0,1]
	v_pk_fma_f16 v28, v229, v17, v29 op_sel_hi:[1,0,1]
	s_waitcnt vmcnt(5)
	v_cvt_f16_i16_sdwa v235, sext(v236) dst_sel:DWORD dst_unused:UNUSED_PAD src0_sel:BYTE_0
	v_cvt_f16_i16_sdwa v241, sext(v236) dst_sel:DWORD dst_unused:UNUSED_PAD src0_sel:BYTE_1
	v_lshrrev_b32_e32 v236, 16, v236
	v_pack_b32_f16 v235, v235, v241
	v_cvt_f16_i16_sdwa v241, sext(v236) dst_sel:DWORD dst_unused:UNUSED_PAD src0_sel:BYTE_0
	v_cvt_f16_i16_sdwa v236, sext(v236) dst_sel:DWORD dst_unused:UNUSED_PAD src0_sel:BYTE_1
	v_pack_b32_f16 v236, v241, v236
	s_waitcnt vmcnt(4)
	v_pk_mul_f16 v235, v235, v237 op_sel_hi:[1,0]
	v_pk_mul_f16 v236, v237, v236 op_sel_hi:[0,1]
	v_pk_fma_f16 v16, v232, v17, v16 op_sel:[0,1,0]
	s_waitcnt vmcnt(3)
	v_cvt_f16_i16_sdwa v237, sext(v238) dst_sel:DWORD dst_unused:UNUSED_PAD src0_sel:BYTE_0
	v_cvt_f16_i16_sdwa v241, sext(v238) dst_sel:DWORD dst_unused:UNUSED_PAD src0_sel:BYTE_1
	v_lshrrev_b32_e32 v238, 16, v238
	v_pack_b32_f16 v237, v237, v241
	v_cvt_f16_i16_sdwa v241, sext(v238) dst_sel:DWORD dst_unused:UNUSED_PAD src0_sel:BYTE_0
	v_cvt_f16_i16_sdwa v238, sext(v238) dst_sel:DWORD dst_unused:UNUSED_PAD src0_sel:BYTE_1
	v_pack_b32_f16 v238, v241, v238
	s_waitcnt vmcnt(2)
	v_pk_mul_f16 v237, v237, v239 op_sel_hi:[1,0]
	v_pk_mul_f16 v238, v239, v238 op_sel_hi:[0,1]
	v_pk_fma_f16 v28, v231, v17, v28 op_sel:[0,1,0]
	s_waitcnt vmcnt(1)
	v_cvt_f16_i16_sdwa v239, sext(v240) dst_sel:DWORD dst_unused:UNUSED_PAD src0_sel:BYTE_0
	v_cvt_f16_i16_sdwa v241, sext(v240) dst_sel:DWORD dst_unused:UNUSED_PAD src0_sel:BYTE_1
	v_lshrrev_b32_e32 v240, 16, v240
	v_pack_b32_f16 v239, v239, v241
	v_cvt_f16_i16_sdwa v241, sext(v240) dst_sel:DWORD dst_unused:UNUSED_PAD src0_sel:BYTE_0
	v_cvt_f16_i16_sdwa v240, sext(v240) dst_sel:DWORD dst_unused:UNUSED_PAD src0_sel:BYTE_1
	v_pk_fma_f16 v16, v234, v18, v16 op_sel_hi:[1,0,1]
	v_pack_b32_f16 v240, v241, v240
	v_pk_fma_f16 v17, v233, v18, v28 op_sel_hi:[1,0,1]
	v_pk_fma_f16 v16, v236, v18, v16 op_sel:[0,1,0]
	s_waitcnt vmcnt(0)
	v_pk_mul_f16 v239, v239, v24 op_sel_hi:[1,0]
	v_pk_mul_f16 v24, v24, v240 op_sel_hi:[0,1]
	v_pk_fma_f16 v17, v235, v18, v17 op_sel:[0,1,0]
	v_pk_fma_f16 v16, v238, v19, v16 op_sel_hi:[1,0,1]
	v_pk_fma_f16 v17, v237, v19, v17 op_sel_hi:[1,0,1]
	v_pk_fma_f16 v29, v24, v19, v16 op_sel:[0,1,0]
	s_waitcnt lgkmcnt(0)
	v_pk_fma_f16 v16, v25, v20, v26 op_sel_hi:[1,0,1]
	v_pk_fma_f16 v28, v239, v19, v17 op_sel:[0,1,0]
	v_pk_fma_f16 v17, v30, v20, v27 op_sel_hi:[1,0,1]
	v_pk_fma_f16 v16, v31, v20, v16 op_sel:[0,1,0]
	v_pk_fma_f16 v17, v228, v20, v17 op_sel:[0,1,0]
	v_pk_fma_f16 v16, v229, v21, v16 op_sel_hi:[1,0,1]
	v_pk_fma_f16 v17, v230, v21, v17 op_sel_hi:[1,0,1]
	v_pk_fma_f16 v16, v231, v21, v16 op_sel:[0,1,0]
	v_pk_fma_f16 v17, v232, v21, v17 op_sel:[0,1,0]
	v_pk_fma_f16 v16, v233, v22, v16 op_sel_hi:[1,0,1]
	;; [unrolled: 4-line block ×3, first 2 shown]
	v_pk_fma_f16 v17, v238, v23, v17 op_sel_hi:[1,0,1]
	v_pk_fma_f16 v30, v239, v23, v16 op_sel:[0,1,0]
	v_add_co_u32_e32 v16, vcc, s22, v174
	v_pk_fma_f16 v31, v24, v23, v17 op_sel:[0,1,0]
	v_addc_co_u32_e32 v17, vcc, v175, v227, vcc
	global_load_dword v18, v[16:17], off offset:2
	v_add_co_u32_e32 v16, vcc, s22, v176
	v_addc_co_u32_e32 v17, vcc, v177, v227, vcc
	global_load_ushort v19, v[16:17], off
	v_add_co_u32_e32 v16, vcc, s22, v170
	v_addc_co_u32_e32 v17, vcc, v171, v227, vcc
	global_load_dword v20, v[16:17], off offset:2
	v_add_co_u32_e32 v16, vcc, s22, v172
	v_addc_co_u32_e32 v17, vcc, v173, v227, vcc
	global_load_ushort v21, v[16:17], off
	v_add_co_u32_e32 v16, vcc, s22, v166
	;; [unrolled: 6-line block ×7, first 2 shown]
	v_addc_co_u32_e32 v17, vcc, v147, v227, vcc
	global_load_dword v232, v[16:17], off offset:2
	v_add_co_u32_e32 v16, vcc, s22, v148
	v_addc_co_u32_e32 v17, vcc, v149, v227, vcc
	global_load_ushort v16, v[16:17], off
	s_waitcnt vmcnt(15)
	v_cvt_f16_i16_sdwa v17, sext(v18) dst_sel:DWORD dst_unused:UNUSED_PAD src0_sel:BYTE_0
	v_cvt_f16_i16_sdwa v233, sext(v18) dst_sel:DWORD dst_unused:UNUSED_PAD src0_sel:BYTE_1
	v_lshrrev_b32_e32 v18, 16, v18
	v_pack_b32_f16 v17, v17, v233
	v_cvt_f16_i16_sdwa v233, sext(v18) dst_sel:DWORD dst_unused:UNUSED_PAD src0_sel:BYTE_0
	v_cvt_f16_i16_sdwa v18, sext(v18) dst_sel:DWORD dst_unused:UNUSED_PAD src0_sel:BYTE_1
	v_pack_b32_f16 v18, v233, v18
	s_waitcnt vmcnt(14)
	v_pk_mul_f16 v233, v17, v19 op_sel_hi:[1,0]
	v_pk_mul_f16 v234, v19, v18 op_sel_hi:[0,1]
	s_waitcnt vmcnt(13)
	v_cvt_f16_i16_sdwa v17, sext(v20) dst_sel:DWORD dst_unused:UNUSED_PAD src0_sel:BYTE_0
	v_cvt_f16_i16_sdwa v18, sext(v20) dst_sel:DWORD dst_unused:UNUSED_PAD src0_sel:BYTE_1
	v_pack_b32_f16 v17, v17, v18
	v_lshrrev_b32_e32 v18, 16, v20
	v_cvt_f16_i16_sdwa v19, sext(v18) dst_sel:DWORD dst_unused:UNUSED_PAD src0_sel:BYTE_0
	v_cvt_f16_i16_sdwa v18, sext(v18) dst_sel:DWORD dst_unused:UNUSED_PAD src0_sel:BYTE_1
	v_pack_b32_f16 v18, v19, v18
	s_waitcnt vmcnt(12)
	v_pk_mul_f16 v235, v17, v21 op_sel_hi:[1,0]
	v_pk_mul_f16 v236, v21, v18 op_sel_hi:[0,1]
	s_waitcnt vmcnt(11)
	v_cvt_f16_i16_sdwa v17, sext(v22) dst_sel:DWORD dst_unused:UNUSED_PAD src0_sel:BYTE_0
	v_cvt_f16_i16_sdwa v18, sext(v22) dst_sel:DWORD dst_unused:UNUSED_PAD src0_sel:BYTE_1
	v_pack_b32_f16 v17, v17, v18
	v_lshrrev_b32_e32 v18, 16, v22
	;; [unrolled: 11-line block ×7, first 2 shown]
	v_cvt_f16_i16_sdwa v19, sext(v18) dst_sel:DWORD dst_unused:UNUSED_PAD src0_sel:BYTE_0
	v_cvt_f16_i16_sdwa v18, sext(v18) dst_sel:DWORD dst_unused:UNUSED_PAD src0_sel:BYTE_1
	v_pack_b32_f16 v18, v19, v18
	s_waitcnt vmcnt(0)
	v_pk_mul_f16 v232, v17, v16 op_sel_hi:[1,0]
	v_pk_mul_f16 v243, v16, v18 op_sel_hi:[0,1]
	ds_read_b128 v[20:23], v221 offset:32
	ds_read_b128 v[16:19], v221 offset:48
	s_waitcnt lgkmcnt(1)
	v_pk_fma_f16 v24, v233, v20, v28 op_sel_hi:[1,0,1]
	v_pk_fma_f16 v25, v234, v20, v29 op_sel_hi:[1,0,1]
	v_pk_fma_f16 v24, v235, v20, v24 op_sel:[0,1,0]
	v_pk_fma_f16 v20, v236, v20, v25 op_sel:[0,1,0]
	v_pk_fma_f16 v24, v237, v21, v24 op_sel_hi:[1,0,1]
	v_pk_fma_f16 v20, v238, v21, v20 op_sel_hi:[1,0,1]
	v_pk_fma_f16 v24, v239, v21, v24 op_sel:[0,1,0]
	v_pk_fma_f16 v20, v240, v21, v20 op_sel:[0,1,0]
	;; [unrolled: 4-line block ×4, first 2 shown]
	ds_read_b128 v[24:27], v221 offset:288
	ds_read_b128 v[20:23], v221 offset:304
	s_waitcnt lgkmcnt(1)
	v_pk_fma_f16 v30, v233, v24, v30 op_sel_hi:[1,0,1]
	v_pk_fma_f16 v31, v234, v24, v31 op_sel_hi:[1,0,1]
	v_pk_fma_f16 v30, v235, v24, v30 op_sel:[0,1,0]
	v_pk_fma_f16 v24, v236, v24, v31 op_sel:[0,1,0]
	v_pk_fma_f16 v30, v237, v25, v30 op_sel_hi:[1,0,1]
	v_pk_fma_f16 v24, v238, v25, v24 op_sel_hi:[1,0,1]
	v_pk_fma_f16 v30, v239, v25, v30 op_sel:[0,1,0]
	v_pk_fma_f16 v24, v240, v25, v24 op_sel:[0,1,0]
	;; [unrolled: 4-line block ×4, first 2 shown]
	v_add_co_u32_e32 v24, vcc, s22, v142
	v_addc_co_u32_e32 v25, vcc, v143, v227, vcc
	global_load_dword v30, v[24:25], off offset:2
	v_add_co_u32_e32 v24, vcc, s22, v144
	v_addc_co_u32_e32 v25, vcc, v145, v227, vcc
	global_load_ushort v31, v[24:25], off
	v_add_co_u32_e32 v24, vcc, s22, v138
	v_addc_co_u32_e32 v25, vcc, v139, v227, vcc
	global_load_dword v228, v[24:25], off offset:2
	v_add_co_u32_e32 v24, vcc, s22, v140
	v_addc_co_u32_e32 v25, vcc, v141, v227, vcc
	global_load_ushort v229, v[24:25], off
	;; [unrolled: 6-line block ×8, first 2 shown]
	v_add_co_u32_e32 v50, vcc, s46, v50
	s_waitcnt vmcnt(15)
	v_cvt_f16_i16_sdwa v25, sext(v30) dst_sel:DWORD dst_unused:UNUSED_PAD src0_sel:BYTE_0
	v_cvt_f16_i16_sdwa v227, sext(v30) dst_sel:DWORD dst_unused:UNUSED_PAD src0_sel:BYTE_1
	v_lshrrev_b32_e32 v30, 16, v30
	v_pack_b32_f16 v25, v25, v227
	v_cvt_f16_i16_sdwa v227, sext(v30) dst_sel:DWORD dst_unused:UNUSED_PAD src0_sel:BYTE_0
	v_cvt_f16_i16_sdwa v30, sext(v30) dst_sel:DWORD dst_unused:UNUSED_PAD src0_sel:BYTE_1
	v_pack_b32_f16 v30, v227, v30
	s_waitcnt vmcnt(14)
	v_pk_mul_f16 v25, v25, v31 op_sel_hi:[1,0]
	v_pk_mul_f16 v30, v31, v30 op_sel_hi:[0,1]
	v_pk_fma_f16 v28, v25, v16, v28 op_sel_hi:[1,0,1]
	s_waitcnt vmcnt(13)
	v_cvt_f16_i16_sdwa v31, sext(v228) dst_sel:DWORD dst_unused:UNUSED_PAD src0_sel:BYTE_0
	v_cvt_f16_i16_sdwa v227, sext(v228) dst_sel:DWORD dst_unused:UNUSED_PAD src0_sel:BYTE_1
	v_pack_b32_f16 v31, v31, v227
	v_lshrrev_b32_e32 v227, 16, v228
	v_cvt_f16_i16_sdwa v228, sext(v227) dst_sel:DWORD dst_unused:UNUSED_PAD src0_sel:BYTE_0
	v_cvt_f16_i16_sdwa v227, sext(v227) dst_sel:DWORD dst_unused:UNUSED_PAD src0_sel:BYTE_1
	v_pack_b32_f16 v227, v228, v227
	s_waitcnt vmcnt(12)
	v_pk_mul_f16 v31, v31, v229 op_sel_hi:[1,0]
	v_pk_mul_f16 v227, v229, v227 op_sel_hi:[0,1]
	v_pk_fma_f16 v29, v30, v16, v29 op_sel_hi:[1,0,1]
	s_waitcnt vmcnt(11)
	v_cvt_f16_i16_sdwa v228, sext(v230) dst_sel:DWORD dst_unused:UNUSED_PAD src0_sel:BYTE_0
	v_cvt_f16_i16_sdwa v229, sext(v230) dst_sel:DWORD dst_unused:UNUSED_PAD src0_sel:BYTE_1
	v_pack_b32_f16 v228, v228, v229
	v_lshrrev_b32_e32 v229, 16, v230
	v_cvt_f16_i16_sdwa v230, sext(v229) dst_sel:DWORD dst_unused:UNUSED_PAD src0_sel:BYTE_0
	v_cvt_f16_i16_sdwa v229, sext(v229) dst_sel:DWORD dst_unused:UNUSED_PAD src0_sel:BYTE_1
	v_pack_b32_f16 v229, v230, v229
	s_waitcnt vmcnt(10)
	v_pk_mul_f16 v228, v228, v231 op_sel_hi:[1,0]
	v_pk_mul_f16 v229, v231, v229 op_sel_hi:[0,1]
	v_pk_fma_f16 v28, v31, v16, v28 op_sel:[0,1,0]
	s_waitcnt vmcnt(9)
	v_cvt_f16_i16_sdwa v230, sext(v232) dst_sel:DWORD dst_unused:UNUSED_PAD src0_sel:BYTE_0
	v_cvt_f16_i16_sdwa v231, sext(v232) dst_sel:DWORD dst_unused:UNUSED_PAD src0_sel:BYTE_1
	v_pack_b32_f16 v230, v230, v231
	v_lshrrev_b32_e32 v231, 16, v232
	v_cvt_f16_i16_sdwa v232, sext(v231) dst_sel:DWORD dst_unused:UNUSED_PAD src0_sel:BYTE_0
	v_cvt_f16_i16_sdwa v231, sext(v231) dst_sel:DWORD dst_unused:UNUSED_PAD src0_sel:BYTE_1
	v_pack_b32_f16 v231, v232, v231
	s_waitcnt vmcnt(8)
	v_pk_mul_f16 v230, v230, v233 op_sel_hi:[1,0]
	v_pk_mul_f16 v231, v233, v231 op_sel_hi:[0,1]
	v_pk_fma_f16 v16, v227, v16, v29 op_sel:[0,1,0]
	s_waitcnt vmcnt(7)
	v_cvt_f16_i16_sdwa v232, sext(v234) dst_sel:DWORD dst_unused:UNUSED_PAD src0_sel:BYTE_0
	v_cvt_f16_i16_sdwa v233, sext(v234) dst_sel:DWORD dst_unused:UNUSED_PAD src0_sel:BYTE_1
	v_pack_b32_f16 v232, v232, v233
	v_lshrrev_b32_e32 v233, 16, v234
	v_cvt_f16_i16_sdwa v234, sext(v233) dst_sel:DWORD dst_unused:UNUSED_PAD src0_sel:BYTE_0
	v_cvt_f16_i16_sdwa v233, sext(v233) dst_sel:DWORD dst_unused:UNUSED_PAD src0_sel:BYTE_1
	v_pack_b32_f16 v233, v234, v233
	s_waitcnt vmcnt(6)
	v_pk_mul_f16 v232, v232, v235 op_sel_hi:[1,0]
	v_pk_mul_f16 v233, v235, v233 op_sel_hi:[0,1]
	v_pk_fma_f16 v28, v228, v17, v28 op_sel_hi:[1,0,1]
	s_waitcnt vmcnt(5)
	v_cvt_f16_i16_sdwa v234, sext(v236) dst_sel:DWORD dst_unused:UNUSED_PAD src0_sel:BYTE_0
	v_cvt_f16_i16_sdwa v235, sext(v236) dst_sel:DWORD dst_unused:UNUSED_PAD src0_sel:BYTE_1
	v_pack_b32_f16 v234, v234, v235
	v_lshrrev_b32_e32 v235, 16, v236
	v_cvt_f16_i16_sdwa v236, sext(v235) dst_sel:DWORD dst_unused:UNUSED_PAD src0_sel:BYTE_0
	v_cvt_f16_i16_sdwa v235, sext(v235) dst_sel:DWORD dst_unused:UNUSED_PAD src0_sel:BYTE_1
	v_pack_b32_f16 v235, v236, v235
	s_waitcnt vmcnt(4)
	v_pk_mul_f16 v234, v234, v237 op_sel_hi:[1,0]
	v_pk_mul_f16 v235, v237, v235 op_sel_hi:[0,1]
	v_pk_fma_f16 v16, v229, v17, v16 op_sel_hi:[1,0,1]
	s_waitcnt vmcnt(3)
	v_cvt_f16_i16_sdwa v236, sext(v238) dst_sel:DWORD dst_unused:UNUSED_PAD src0_sel:BYTE_0
	v_cvt_f16_i16_sdwa v237, sext(v238) dst_sel:DWORD dst_unused:UNUSED_PAD src0_sel:BYTE_1
	v_pack_b32_f16 v236, v236, v237
	v_lshrrev_b32_e32 v237, 16, v238
	v_cvt_f16_i16_sdwa v238, sext(v237) dst_sel:DWORD dst_unused:UNUSED_PAD src0_sel:BYTE_0
	v_cvt_f16_i16_sdwa v237, sext(v237) dst_sel:DWORD dst_unused:UNUSED_PAD src0_sel:BYTE_1
	v_pack_b32_f16 v237, v238, v237
	s_waitcnt vmcnt(2)
	v_pk_mul_f16 v236, v236, v239 op_sel_hi:[1,0]
	v_pk_mul_f16 v237, v239, v237 op_sel_hi:[0,1]
	v_pk_fma_f16 v28, v230, v17, v28 op_sel:[0,1,0]
	s_waitcnt vmcnt(1)
	v_cvt_f16_i16_sdwa v238, sext(v240) dst_sel:DWORD dst_unused:UNUSED_PAD src0_sel:BYTE_0
	v_cvt_f16_i16_sdwa v239, sext(v240) dst_sel:DWORD dst_unused:UNUSED_PAD src0_sel:BYTE_1
	v_pack_b32_f16 v238, v238, v239
	v_lshrrev_b32_e32 v239, 16, v240
	v_pk_fma_f16 v16, v231, v17, v16 op_sel:[0,1,0]
	v_cvt_f16_i16_sdwa v240, sext(v239) dst_sel:DWORD dst_unused:UNUSED_PAD src0_sel:BYTE_0
	v_cvt_f16_i16_sdwa v239, sext(v239) dst_sel:DWORD dst_unused:UNUSED_PAD src0_sel:BYTE_1
	v_pk_fma_f16 v17, v232, v18, v28 op_sel_hi:[1,0,1]
	v_pk_fma_f16 v16, v233, v18, v16 op_sel_hi:[1,0,1]
	v_pack_b32_f16 v239, v240, v239
	v_pk_fma_f16 v17, v234, v18, v17 op_sel:[0,1,0]
	v_pk_fma_f16 v16, v235, v18, v16 op_sel:[0,1,0]
	s_waitcnt vmcnt(0)
	v_pk_mul_f16 v238, v238, v24 op_sel_hi:[1,0]
	v_pk_mul_f16 v24, v24, v239 op_sel_hi:[0,1]
	v_pk_fma_f16 v17, v236, v19, v17 op_sel_hi:[1,0,1]
	v_pk_fma_f16 v18, v237, v19, v16 op_sel_hi:[1,0,1]
	v_pk_fma_f16 v16, v238, v19, v17 op_sel:[0,1,0]
	v_pk_fma_f16 v17, v24, v19, v18 op_sel:[0,1,0]
	s_waitcnt lgkmcnt(0)
	v_pk_fma_f16 v18, v25, v20, v26 op_sel_hi:[1,0,1]
	v_pk_fma_f16 v19, v30, v20, v27 op_sel_hi:[1,0,1]
	v_pk_fma_f16 v18, v31, v20, v18 op_sel:[0,1,0]
	v_pk_fma_f16 v19, v227, v20, v19 op_sel:[0,1,0]
	v_pk_fma_f16 v18, v228, v21, v18 op_sel_hi:[1,0,1]
	v_pk_fma_f16 v19, v229, v21, v19 op_sel_hi:[1,0,1]
	v_pk_fma_f16 v18, v230, v21, v18 op_sel:[0,1,0]
	v_pk_fma_f16 v19, v231, v21, v19 op_sel:[0,1,0]
	;; [unrolled: 4-line block ×4, first 2 shown]
	ds_write_b128 v212, v[16:19]
	v_mov_b32_e32 v16, s47
	v_addc_co_u32_e32 v51, vcc, v51, v16, vcc
	v_add_co_u32_e32 v202, vcc, s46, v202
	v_addc_co_u32_e32 v1, vcc, v1, v16, vcc
	v_add_co_u32_e32 v52, vcc, s46, v52
	v_addc_co_u32_e32 v53, vcc, v53, v16, vcc
	v_mov_b32_e32 v16, s48
	v_add_co_u32_e32 v58, vcc, s41, v58
	v_addc_co_u32_e32 v59, vcc, v59, v16, vcc
	v_add_co_u32_e32 v60, vcc, s41, v60
	v_addc_co_u32_e32 v61, vcc, v61, v16, vcc
	;; [unrolled: 2-line block ×8, first 2 shown]
	v_mov_b32_e32 v16, s51
	v_add_co_u32_e32 v62, vcc, s50, v62
	v_addc_co_u32_e32 v63, vcc, v63, v16, vcc
	v_add_co_u32_e32 v64, vcc, s50, v64
	v_addc_co_u32_e32 v65, vcc, v65, v16, vcc
	;; [unrolled: 2-line block ×64, first 2 shown]
	s_cbranch_scc1 .LBB22_66
.LBB22_18:                              ; =>This Inner Loop Header: Depth=1
	v_mov_b32_e32 v16, s27
	v_add_co_u32_e32 v22, vcc, s23, v108
	v_addc_co_u32_e32 v23, vcc, v109, v16, vcc
	v_add_co_u32_e32 v24, vcc, s23, v100
	v_addc_co_u32_e32 v25, vcc, v101, v16, vcc
	global_load_dword v17, v[22:23], off
	global_load_ushort v16, v[22:23], off offset:4
	global_load_dword v21, v[24:25], off offset:6
	global_load_dword v18, v[22:23], off offset:22
	global_load_ushort v26, v[22:23], off offset:26
	global_load_dword v27, v[24:25], off offset:28
	global_load_dword v19, v[22:23], off offset:44
	;; [unrolled: 3-line block ×3, first 2 shown]
	global_load_ushort v30, v[22:23], off offset:70
	global_load_dword v31, v[24:25], off offset:72
	s_waitcnt vmcnt(10)
	v_perm_b32 v16, v17, v16, s53
	s_waitcnt vmcnt(9)
	v_and_b32_e32 v22, 0xf0f0f0f, v21
	v_lshrrev_b32_e32 v21, 4, v21
	s_waitcnt vmcnt(7)
	v_perm_b32 v23, v18, v26, s53
	s_waitcnt vmcnt(6)
	v_and_b32_e32 v24, 0xf0f0f0f, v27
	v_lshrrev_b32_e32 v25, 4, v27
	;; [unrolled: 5-line block ×3, first 2 shown]
	v_ashrrev_i32_e32 v29, v32, v16
	v_ashrrev_i32_e32 v16, v33, v16
	;; [unrolled: 1-line block ×5, first 2 shown]
	v_lshlrev_b32_e32 v26, 4, v29
	v_lshlrev_b32_e32 v228, 11, v29
	;; [unrolled: 1-line block ×4, first 2 shown]
	v_ashrrev_i32_e32 v23, v33, v23
	v_lshlrev_b32_e32 v230, 4, v16
	v_lshlrev_b32_e32 v231, 11, v16
	;; [unrolled: 1-line block ×12, first 2 shown]
	v_and_b32_e32 v229, 0x100000, v229
	v_and_b32_e32 v29, 0x10000000, v29
	;; [unrolled: 1-line block ×3, first 2 shown]
	v_lshlrev_b32_e32 v236, 4, v23
	v_lshlrev_b32_e32 v237, 11, v23
	;; [unrolled: 1-line block ×4, first 2 shown]
	v_and_b32_e32 v26, 16, v26
	v_and_b32_e32 v228, 0x1000, v228
	;; [unrolled: 1-line block ×8, first 2 shown]
	v_or3_b32 v22, v29, v22, v229
	v_and_b32_e32 v25, 0xf0f0f0f, v25
	v_and_b32_e32 v230, 16, v230
	;; [unrolled: 1-line block ×9, first 2 shown]
	v_or3_b32 v16, v16, v21, v232
	v_or3_b32 v21, v206, v24, v235
	;; [unrolled: 1-line block ×4, first 2 shown]
	v_and_b32_e32 v22, 0xf0f0f0f, v28
	v_lshlrev_b32_e32 v28, 18, v227
	v_lshlrev_b32_e32 v29, 25, v227
	v_or3_b32 v23, v23, v25, v238
	v_or3_b32 v26, v16, v230, v231
	;; [unrolled: 1-line block ×4, first 2 shown]
	v_lshlrev_b32_e32 v16, 4, v227
	v_lshlrev_b32_e32 v24, 11, v227
	v_and_b32_e32 v28, 0x100000, v28
	v_and_b32_e32 v29, 0x10000000, v29
	;; [unrolled: 1-line block ×4, first 2 shown]
	v_or3_b32 v22, v29, v22, v28
	v_or3_b32 v22, v22, v16, v24
	s_waitcnt vmcnt(1)
	v_perm_b32 v16, v20, v30, s53
	v_ashrrev_i32_e32 v24, v32, v16
	v_lshlrev_b32_e32 v28, 4, v24
	v_lshlrev_b32_e32 v30, 11, v24
	;; [unrolled: 1-line block ×4, first 2 shown]
	s_waitcnt vmcnt(0)
	v_and_b32_e32 v29, 0xf0f0f0f, v31
	v_and_b32_e32 v206, 0x100000, v206
	v_and_b32_e32 v24, 0x10000000, v24
	v_and_b32_e32 v28, 16, v28
	v_and_b32_e32 v30, 0x1000, v30
	v_or3_b32 v24, v24, v29, v206
	v_ashrrev_i32_e32 v16, v33, v16
	v_or3_b32 v24, v24, v28, v30
	v_lshrrev_b32_e32 v28, 4, v31
	v_lshlrev_b32_e32 v29, 4, v16
	v_lshlrev_b32_e32 v30, 11, v16
	;; [unrolled: 1-line block ×4, first 2 shown]
	v_and_b32_e32 v28, 0xf0f0f0f, v28
	v_and_b32_e32 v31, 0x100000, v31
	;; [unrolled: 1-line block ×3, first 2 shown]
	v_or3_b32 v16, v16, v28, v31
	v_mov_b32_e32 v28, 0
	v_dot4c_i32_i8_e32 v28, v27, v34
	v_and_b32_e32 v29, 16, v29
	v_and_b32_e32 v30, 0x1000, v30
	;; [unrolled: 1-line block ×3, first 2 shown]
	v_cvt_f32_i32_e32 v31, v28
	v_mov_b32_e32 v28, 0
	v_dot4c_i32_i8_e32 v28, v26, v35
	v_and_b32_e32 v237, 0x1000, v237
	v_or3_b32 v23, v23, v236, v237
	s_nop 0
	v_cvt_f32_i32_e32 v206, v28
	v_or3_b32 v28, v16, v29, v30
	v_mov_b32_e32 v30, 0
	v_fma_f32 v16, v0, v31, -v222
	v_dot4c_i32_i8_e32 v30, v25, v36
	v_mov_b32_e32 v31, 0
	v_dot4c_i32_i8_e32 v31, v23, v37
	v_fma_mix_f32 v16, v16, v17, 0 op_sel_hi:[0,1,0]
	v_cvt_f32_i32_e32 v30, v30
	v_fma_f32 v29, v0, v206, -v222
	v_cvt_f32_i32_e32 v31, v31
	v_fma_mix_f32 v16, v29, v17, v16 op_sel_hi:[0,1,0]
	v_fma_f32 v29, v2, v30, -v3
	v_mov_b32_e32 v30, 0
	v_fma_mix_f32 v16, v29, v18, v16 op_sel_hi:[0,1,0]
	v_fma_f32 v29, v2, v31, -v3
	v_dot4c_i32_i8_e32 v30, v21, v38
	v_mov_b32_e32 v31, 0
	v_dot4c_i32_i8_e32 v31, v22, v39
	v_fma_mix_f32 v16, v29, v18, v16 op_sel_hi:[0,1,0]
	v_cvt_f32_i32_e32 v30, v30
	v_fma_f32 v29, v4, v30, -v5
	v_cvt_f32_i32_e32 v31, v31
	v_mov_b32_e32 v30, 0
	v_fma_mix_f32 v16, v29, v19, v16 op_sel_hi:[0,1,0]
	v_dot4c_i32_i8_e32 v30, v24, v40
	v_fma_f32 v29, v4, v31, -v5
	v_mov_b32_e32 v31, 0
	v_dot4c_i32_i8_e32 v31, v28, v41
	v_cvt_f32_i32_e32 v30, v30
	v_fma_mix_f32 v16, v29, v19, v16 op_sel_hi:[0,1,0]
	v_fma_f32 v29, v6, v30, -v7
	v_cvt_f32_i32_e32 v31, v31
	v_fma_mix_f32 v16, v29, v20, v16 op_sel_hi:[0,1,0]
	v_fma_f32 v29, v6, v31, -v7
	v_fma_mix_f32 v16, v29, v20, v16 op_sel_hi:[0,1,0]
	ds_bpermute_b32 v29, v216, v16
	s_waitcnt lgkmcnt(0)
	v_add_f32_e32 v16, v16, v29
	ds_bpermute_b32 v29, v217, v16
	s_waitcnt lgkmcnt(0)
	v_add_f32_e32 v16, v16, v29
	v_cmp_nlt_f32_e64 s[12:13], |v16|, s54
                                        ; implicit-def: $vgpr29
	s_and_saveexec_b64 s[14:15], s[12:13]
	s_xor_b64 s[12:13], exec, s[14:15]
	s_cbranch_execz .LBB22_20
; %bb.19:                               ;   in Loop: Header=BB22_18 Depth=1
	v_add_f32_e64 v29, |v16|, |v16|
	v_mul_f32_e32 v30, 0x3fb8aa3b, v29
	v_rndne_f32_e32 v31, v30
	v_sub_f32_e32 v206, v30, v31
	v_fma_f32 v30, v29, s55, -v30
	v_fmac_f32_e32 v30, 0x32a5705f, v29
	v_add_f32_e32 v30, v206, v30
	v_cvt_i32_f32_e32 v31, v31
	v_exp_f32_e32 v30, v30
	v_cmp_ngt_f32_e32 vcc, s56, v29
	v_ldexp_f32 v30, v30, v31
	v_cndmask_b32_e32 v30, 0, v30, vcc
	v_cmp_nlt_f32_e32 vcc, s57, v29
	v_cndmask_b32_e32 v29, v226, v30, vcc
	v_add_f32_e32 v29, 1.0, v29
	v_rcp_f32_e32 v29, v29
	v_fma_f32 v29, v29, -2.0, 1.0
.LBB22_20:                              ;   in Loop: Header=BB22_18 Depth=1
	s_andn2_saveexec_b64 s[12:13], s[12:13]
; %bb.21:                               ;   in Loop: Header=BB22_18 Depth=1
	v_mul_f32_e32 v29, v16, v16
	v_mov_b32_e32 v30, 0x3ca908c9
	v_fmac_f32_e32 v30, 0xbbbac73d, v29
	v_fma_f32 v30, v29, v30, v223
	v_fma_f32 v30, v29, v30, v224
	;; [unrolled: 1-line block ×3, first 2 shown]
	v_mul_f32_e64 v30, |v16|, v30
	v_fma_f32 v29, v29, v30, |v16|
; %bb.22:                               ;   in Loop: Header=BB22_18 Depth=1
	s_or_b64 exec, exec, s[12:13]
	v_bfi_b32 v16, s58, v29, v16
	v_cndmask_b32_e64 v29, 0, 1, s[42:43]
	v_cmp_ne_u32_e64 s[12:13], 1, v29
	s_andn2_b64 vcc, exec, s[42:43]
	v_mul_f32_e32 v16, s39, v16
	s_cbranch_vccnz .LBB22_24
; %bb.23:                               ;   in Loop: Header=BB22_18 Depth=1
	v_mov_b32_e32 v29, s49
	v_add_co_u32_e32 v30, vcc, s38, v202
	v_addc_co_u32_e32 v31, vcc, v1, v29, vcc
	global_load_ushort v29, v[30:31], off
	s_waitcnt vmcnt(0)
	v_fma_mix_f32 v16, v214, v29, v16 op_sel_hi:[0,1,0]
.LBB22_24:                              ;   in Loop: Header=BB22_18 Depth=1
	v_mov_b32_e32 v29, 0
	v_dot4c_i32_i8_e32 v29, v27, v42
	v_cvt_f32_f16_e32 v17, v17
	v_cvt_f32_f16_e32 v18, v18
	;; [unrolled: 1-line block ×3, first 2 shown]
	v_cvt_f32_i32_e32 v27, v29
	v_mov_b32_e32 v29, 0
	v_dot4c_i32_i8_e32 v29, v26, v43
	v_cvt_f32_f16_e32 v20, v20
	v_fma_f32 v27, v8, v27, -v9
	v_fma_f32 v27, v27, v17, 0
	v_cvt_f32_i32_e32 v26, v29
	v_mov_b32_e32 v29, 0
	v_dot4c_i32_i8_e32 v29, v25, v44
	v_fma_f32 v26, v8, v26, -v9
	v_fmac_f32_e32 v27, v26, v17
	s_nop 0
	v_cvt_f32_i32_e32 v25, v29
	v_mov_b32_e32 v29, 0
	v_dot4c_i32_i8_e32 v29, v23, v45
	v_fma_f32 v17, v10, v25, -v11
	v_fmac_f32_e32 v27, v17, v18
	s_nop 0
	v_cvt_f32_i32_e32 v23, v29
	v_fma_f32 v17, v10, v23, -v11
	v_mov_b32_e32 v23, 0
	v_dot4c_i32_i8_e32 v23, v21, v46
	v_fmac_f32_e32 v27, v17, v18
	v_mov_b32_e32 v18, 0
	v_dot4c_i32_i8_e32 v18, v24, v48
	v_cvt_f32_i32_e32 v21, v23
	v_mov_b32_e32 v23, 0
	v_dot4c_i32_i8_e32 v23, v22, v47
	v_cvt_f32_i32_e32 v18, v18
	v_fma_f32 v17, v12, v21, -v13
	v_mov_b32_e32 v21, 0
	v_cvt_f32_i32_e32 v22, v23
	v_dot4c_i32_i8_e32 v21, v28, v49
	v_fmac_f32_e32 v27, v17, v19
	v_fma_f32 v17, v12, v22, -v13
	s_nop 0
	v_cvt_f32_i32_e32 v21, v21
	v_fmac_f32_e32 v27, v17, v19
	v_fma_f32 v17, v14, v18, -v15
	v_fmac_f32_e32 v27, v17, v20
	v_fma_f32 v17, v14, v21, -v15
	v_fmac_f32_e32 v27, v17, v20
	ds_bpermute_b32 v17, v216, v27
	s_waitcnt lgkmcnt(0)
	v_add_f32_e32 v17, v27, v17
	ds_bpermute_b32 v18, v217, v17
	s_waitcnt lgkmcnt(0)
	v_add_f32_e32 v17, v17, v18
	v_cmp_nlt_f32_e64 s[14:15], |v17|, s54
                                        ; implicit-def: $vgpr18
	s_and_saveexec_b64 s[18:19], s[14:15]
	s_xor_b64 s[14:15], exec, s[18:19]
	s_cbranch_execz .LBB22_26
; %bb.25:                               ;   in Loop: Header=BB22_18 Depth=1
	v_add_f32_e64 v18, |v17|, |v17|
	v_mul_f32_e32 v19, 0x3fb8aa3b, v18
	v_rndne_f32_e32 v20, v19
	v_sub_f32_e32 v21, v19, v20
	v_fma_f32 v19, v18, s55, -v19
	v_fmac_f32_e32 v19, 0x32a5705f, v18
	v_add_f32_e32 v19, v21, v19
	v_cvt_i32_f32_e32 v20, v20
	v_exp_f32_e32 v19, v19
	v_cmp_ngt_f32_e32 vcc, s56, v18
	v_ldexp_f32 v19, v19, v20
	v_cndmask_b32_e32 v19, 0, v19, vcc
	v_cmp_nlt_f32_e32 vcc, s57, v18
	v_cndmask_b32_e32 v18, v226, v19, vcc
	v_add_f32_e32 v18, 1.0, v18
	v_rcp_f32_e32 v18, v18
	v_fma_f32 v18, v18, -2.0, 1.0
.LBB22_26:                              ;   in Loop: Header=BB22_18 Depth=1
	s_andn2_saveexec_b64 s[14:15], s[14:15]
; %bb.27:                               ;   in Loop: Header=BB22_18 Depth=1
	v_mul_f32_e32 v18, v17, v17
	v_mov_b32_e32 v19, 0x3ca908c9
	v_fmac_f32_e32 v19, 0xbbbac73d, v18
	v_fma_f32 v19, v18, v19, v223
	v_fma_f32 v19, v18, v19, v224
	;; [unrolled: 1-line block ×3, first 2 shown]
	v_mul_f32_e64 v19, |v17|, v19
	v_fma_f32 v18, v18, v19, |v17|
; %bb.28:                               ;   in Loop: Header=BB22_18 Depth=1
	s_or_b64 exec, exec, s[14:15]
	v_bfi_b32 v17, s58, v18, v17
	v_cndmask_b32_e64 v18, 0, 1, s[44:45]
	v_cmp_ne_u32_e64 s[14:15], 1, v18
	s_andn2_b64 vcc, exec, s[44:45]
	v_mul_f32_e32 v17, s39, v17
	s_cbranch_vccnz .LBB22_30
; %bb.29:                               ;   in Loop: Header=BB22_18 Depth=1
	v_mov_b32_e32 v19, s49
	v_add_co_u32_e32 v18, vcc, s38, v50
	v_addc_co_u32_e32 v19, vcc, v51, v19, vcc
	global_load_ushort v18, v[18:19], off
	s_waitcnt vmcnt(0)
	v_fma_mix_f32 v17, v214, v18, v17 op_sel_hi:[0,1,0]
.LBB22_30:                              ;   in Loop: Header=BB22_18 Depth=1
	v_mov_b32_e32 v18, s27
	v_add_co_u32_e32 v24, vcc, s23, v84
	v_addc_co_u32_e32 v25, vcc, v85, v18, vcc
	v_add_co_u32_e32 v26, vcc, s23, v82
	v_addc_co_u32_e32 v27, vcc, v83, v18, vcc
	global_load_dword v19, v[24:25], off
	global_load_ushort v18, v[24:25], off offset:4
	global_load_dword v23, v[26:27], off offset:6
	global_load_dword v20, v[24:25], off offset:22
	global_load_ushort v28, v[24:25], off offset:26
	global_load_dword v29, v[26:27], off offset:28
	global_load_dword v21, v[24:25], off offset:44
	;; [unrolled: 3-line block ×3, first 2 shown]
	global_load_ushort v206, v[24:25], off offset:70
	global_load_dword v207, v[26:27], off offset:72
	s_waitcnt vmcnt(10)
	v_perm_b32 v18, v19, v18, s53
	s_waitcnt vmcnt(9)
	v_and_b32_e32 v24, 0xf0f0f0f, v23
	v_lshrrev_b32_e32 v23, 4, v23
	s_waitcnt vmcnt(7)
	v_perm_b32 v25, v20, v28, s53
	s_waitcnt vmcnt(6)
	v_and_b32_e32 v26, 0xf0f0f0f, v29
	v_lshrrev_b32_e32 v27, 4, v29
	;; [unrolled: 5-line block ×3, first 2 shown]
	v_ashrrev_i32_e32 v31, v32, v18
	v_ashrrev_i32_e32 v18, v33, v18
	;; [unrolled: 1-line block ×5, first 2 shown]
	v_lshlrev_b32_e32 v28, 4, v31
	v_lshlrev_b32_e32 v230, 11, v31
	;; [unrolled: 1-line block ×4, first 2 shown]
	v_ashrrev_i32_e32 v25, v33, v25
	v_lshlrev_b32_e32 v232, 4, v18
	v_lshlrev_b32_e32 v233, 11, v18
	;; [unrolled: 1-line block ×12, first 2 shown]
	v_and_b32_e32 v231, 0x100000, v231
	v_and_b32_e32 v31, 0x10000000, v31
	v_and_b32_e32 v23, 0xf0f0f0f, v23
	v_lshlrev_b32_e32 v238, 4, v25
	v_lshlrev_b32_e32 v239, 11, v25
	;; [unrolled: 1-line block ×4, first 2 shown]
	v_and_b32_e32 v28, 16, v28
	v_and_b32_e32 v230, 0x1000, v230
	;; [unrolled: 1-line block ×8, first 2 shown]
	v_or3_b32 v24, v31, v24, v231
	v_and_b32_e32 v27, 0xf0f0f0f, v27
	v_and_b32_e32 v232, 16, v232
	;; [unrolled: 1-line block ×9, first 2 shown]
	v_or3_b32 v18, v18, v23, v234
	v_or3_b32 v23, v227, v26, v237
	;; [unrolled: 1-line block ×4, first 2 shown]
	v_and_b32_e32 v24, 0xf0f0f0f, v30
	v_lshlrev_b32_e32 v30, 18, v229
	v_lshlrev_b32_e32 v31, 25, v229
	v_or3_b32 v25, v25, v27, v240
	v_or3_b32 v28, v18, v232, v233
	;; [unrolled: 1-line block ×4, first 2 shown]
	v_lshlrev_b32_e32 v18, 4, v229
	v_lshlrev_b32_e32 v26, 11, v229
	v_and_b32_e32 v30, 0x100000, v30
	v_and_b32_e32 v31, 0x10000000, v31
	;; [unrolled: 1-line block ×4, first 2 shown]
	v_or3_b32 v24, v31, v24, v30
	v_or3_b32 v24, v24, v18, v26
	s_waitcnt vmcnt(1)
	v_perm_b32 v18, v22, v206, s53
	v_ashrrev_i32_e32 v26, v32, v18
	v_lshlrev_b32_e32 v30, 4, v26
	v_lshlrev_b32_e32 v206, 11, v26
	;; [unrolled: 1-line block ×4, first 2 shown]
	s_waitcnt vmcnt(0)
	v_and_b32_e32 v31, 0xf0f0f0f, v207
	v_and_b32_e32 v227, 0x100000, v227
	;; [unrolled: 1-line block ×5, first 2 shown]
	v_or3_b32 v26, v26, v31, v227
	v_ashrrev_i32_e32 v18, v33, v18
	v_or3_b32 v26, v26, v30, v206
	v_lshrrev_b32_e32 v30, 4, v207
	v_lshlrev_b32_e32 v31, 4, v18
	v_lshlrev_b32_e32 v206, 11, v18
	v_lshlrev_b32_e32 v207, 18, v18
	v_lshlrev_b32_e32 v18, 25, v18
	v_and_b32_e32 v30, 0xf0f0f0f, v30
	v_and_b32_e32 v207, 0x100000, v207
	;; [unrolled: 1-line block ×3, first 2 shown]
	v_or3_b32 v18, v18, v30, v207
	v_mov_b32_e32 v30, 0
	v_dot4c_i32_i8_e32 v30, v29, v34
	v_and_b32_e32 v31, 16, v31
	v_and_b32_e32 v206, 0x1000, v206
	v_and_b32_e32 v238, 16, v238
	v_cvt_f32_i32_e32 v207, v30
	v_mov_b32_e32 v30, 0
	v_dot4c_i32_i8_e32 v30, v28, v35
	v_and_b32_e32 v239, 0x1000, v239
	v_or3_b32 v25, v25, v238, v239
	s_nop 0
	v_cvt_f32_i32_e32 v227, v30
	v_or3_b32 v30, v18, v31, v206
	v_mov_b32_e32 v206, 0
	v_fma_f32 v18, v0, v207, -v222
	v_dot4c_i32_i8_e32 v206, v27, v36
	v_mov_b32_e32 v207, 0
	v_dot4c_i32_i8_e32 v207, v25, v37
	v_fma_mix_f32 v18, v18, v19, 0 op_sel_hi:[0,1,0]
	v_cvt_f32_i32_e32 v206, v206
	v_fma_f32 v31, v0, v227, -v222
	v_cvt_f32_i32_e32 v207, v207
	v_fma_mix_f32 v18, v31, v19, v18 op_sel_hi:[0,1,0]
	v_fma_f32 v31, v2, v206, -v3
	v_mov_b32_e32 v206, 0
	v_fma_mix_f32 v18, v31, v20, v18 op_sel_hi:[0,1,0]
	v_fma_f32 v31, v2, v207, -v3
	v_dot4c_i32_i8_e32 v206, v23, v38
	v_mov_b32_e32 v207, 0
	v_dot4c_i32_i8_e32 v207, v24, v39
	v_fma_mix_f32 v18, v31, v20, v18 op_sel_hi:[0,1,0]
	v_cvt_f32_i32_e32 v206, v206
	v_fma_f32 v31, v4, v206, -v5
	v_cvt_f32_i32_e32 v207, v207
	v_mov_b32_e32 v206, 0
	v_fma_mix_f32 v18, v31, v21, v18 op_sel_hi:[0,1,0]
	v_dot4c_i32_i8_e32 v206, v26, v40
	v_fma_f32 v31, v4, v207, -v5
	v_mov_b32_e32 v207, 0
	v_dot4c_i32_i8_e32 v207, v30, v41
	v_cvt_f32_i32_e32 v206, v206
	v_fma_mix_f32 v18, v31, v21, v18 op_sel_hi:[0,1,0]
	v_fma_f32 v31, v6, v206, -v7
	v_cvt_f32_i32_e32 v207, v207
	v_fma_mix_f32 v18, v31, v22, v18 op_sel_hi:[0,1,0]
	v_fma_f32 v31, v6, v207, -v7
	v_fma_mix_f32 v18, v31, v22, v18 op_sel_hi:[0,1,0]
	ds_bpermute_b32 v31, v216, v18
	s_waitcnt lgkmcnt(0)
	v_add_f32_e32 v18, v18, v31
	ds_bpermute_b32 v31, v217, v18
	s_waitcnt lgkmcnt(0)
	v_add_f32_e32 v18, v18, v31
	v_cmp_nlt_f32_e64 s[18:19], |v18|, s54
                                        ; implicit-def: $vgpr31
	s_and_saveexec_b64 s[20:21], s[18:19]
	s_xor_b64 s[18:19], exec, s[20:21]
	s_cbranch_execz .LBB22_32
; %bb.31:                               ;   in Loop: Header=BB22_18 Depth=1
	v_add_f32_e64 v31, |v18|, |v18|
	v_mul_f32_e32 v206, 0x3fb8aa3b, v31
	v_rndne_f32_e32 v207, v206
	v_sub_f32_e32 v227, v206, v207
	v_fma_f32 v206, v31, s55, -v206
	v_fmac_f32_e32 v206, 0x32a5705f, v31
	v_add_f32_e32 v206, v227, v206
	v_cvt_i32_f32_e32 v207, v207
	v_exp_f32_e32 v206, v206
	v_cmp_ngt_f32_e32 vcc, s56, v31
	v_ldexp_f32 v206, v206, v207
	v_cndmask_b32_e32 v206, 0, v206, vcc
	v_cmp_nlt_f32_e32 vcc, s57, v31
	v_cndmask_b32_e32 v31, v226, v206, vcc
	v_add_f32_e32 v31, 1.0, v31
	v_rcp_f32_e32 v31, v31
	v_fma_f32 v31, v31, -2.0, 1.0
.LBB22_32:                              ;   in Loop: Header=BB22_18 Depth=1
	s_andn2_saveexec_b64 s[18:19], s[18:19]
; %bb.33:                               ;   in Loop: Header=BB22_18 Depth=1
	v_mul_f32_e32 v31, v18, v18
	v_mov_b32_e32 v206, 0x3ca908c9
	v_fmac_f32_e32 v206, 0xbbbac73d, v31
	v_fma_f32 v206, v31, v206, v223
	v_fma_f32 v206, v31, v206, v224
	;; [unrolled: 1-line block ×3, first 2 shown]
	v_mul_f32_e64 v206, |v18|, v206
	v_fma_f32 v31, v31, v206, |v18|
; %bb.34:                               ;   in Loop: Header=BB22_18 Depth=1
	s_or_b64 exec, exec, s[18:19]
	v_bfi_b32 v18, s58, v31, v18
	s_and_b64 vcc, exec, s[12:13]
	v_mul_f32_e32 v18, s39, v18
	s_cbranch_vccnz .LBB22_36
; %bb.35:                               ;   in Loop: Header=BB22_18 Depth=1
	v_mov_b32_e32 v31, s49
	v_add_co_u32_e32 v206, vcc, s38, v202
	v_addc_co_u32_e32 v207, vcc, v1, v31, vcc
	global_load_ushort v31, v[206:207], off offset:2
	s_waitcnt vmcnt(0)
	v_fma_mix_f32 v18, v214, v31, v18 op_sel_hi:[0,1,0]
.LBB22_36:                              ;   in Loop: Header=BB22_18 Depth=1
	v_mov_b32_e32 v31, 0
	v_dot4c_i32_i8_e32 v31, v29, v42
	v_cvt_f32_f16_e32 v19, v19
	v_cvt_f32_f16_e32 v20, v20
	;; [unrolled: 1-line block ×3, first 2 shown]
	v_cvt_f32_i32_e32 v29, v31
	v_mov_b32_e32 v31, 0
	v_dot4c_i32_i8_e32 v31, v28, v43
	v_cvt_f32_f16_e32 v22, v22
	v_fma_f32 v29, v8, v29, -v9
	v_fma_f32 v29, v29, v19, 0
	v_cvt_f32_i32_e32 v28, v31
	v_mov_b32_e32 v31, 0
	v_dot4c_i32_i8_e32 v31, v27, v44
	v_fma_f32 v28, v8, v28, -v9
	v_fmac_f32_e32 v29, v28, v19
	s_nop 0
	v_cvt_f32_i32_e32 v27, v31
	v_mov_b32_e32 v31, 0
	v_dot4c_i32_i8_e32 v31, v25, v45
	v_fma_f32 v19, v10, v27, -v11
	v_fmac_f32_e32 v29, v19, v20
	s_nop 0
	v_cvt_f32_i32_e32 v25, v31
	v_fma_f32 v19, v10, v25, -v11
	v_mov_b32_e32 v25, 0
	v_dot4c_i32_i8_e32 v25, v23, v46
	v_fmac_f32_e32 v29, v19, v20
	v_mov_b32_e32 v20, 0
	v_dot4c_i32_i8_e32 v20, v26, v48
	v_cvt_f32_i32_e32 v23, v25
	v_mov_b32_e32 v25, 0
	v_dot4c_i32_i8_e32 v25, v24, v47
	v_cvt_f32_i32_e32 v20, v20
	v_fma_f32 v19, v12, v23, -v13
	v_mov_b32_e32 v23, 0
	v_cvt_f32_i32_e32 v24, v25
	v_dot4c_i32_i8_e32 v23, v30, v49
	v_fmac_f32_e32 v29, v19, v21
	v_fma_f32 v19, v12, v24, -v13
	s_nop 0
	v_cvt_f32_i32_e32 v23, v23
	v_fmac_f32_e32 v29, v19, v21
	v_fma_f32 v19, v14, v20, -v15
	v_fmac_f32_e32 v29, v19, v22
	v_fma_f32 v19, v14, v23, -v15
	v_fmac_f32_e32 v29, v19, v22
	ds_bpermute_b32 v19, v216, v29
	s_waitcnt lgkmcnt(0)
	v_add_f32_e32 v19, v29, v19
	ds_bpermute_b32 v20, v217, v19
	s_waitcnt lgkmcnt(0)
	v_add_f32_e32 v19, v19, v20
	v_cmp_nlt_f32_e64 s[18:19], |v19|, s54
                                        ; implicit-def: $vgpr20
	s_and_saveexec_b64 s[20:21], s[18:19]
	s_xor_b64 s[18:19], exec, s[20:21]
	s_cbranch_execz .LBB22_38
; %bb.37:                               ;   in Loop: Header=BB22_18 Depth=1
	v_add_f32_e64 v20, |v19|, |v19|
	v_mul_f32_e32 v21, 0x3fb8aa3b, v20
	v_rndne_f32_e32 v22, v21
	v_sub_f32_e32 v23, v21, v22
	v_fma_f32 v21, v20, s55, -v21
	v_fmac_f32_e32 v21, 0x32a5705f, v20
	v_add_f32_e32 v21, v23, v21
	v_cvt_i32_f32_e32 v22, v22
	v_exp_f32_e32 v21, v21
	v_cmp_ngt_f32_e32 vcc, s56, v20
	v_ldexp_f32 v21, v21, v22
	v_cndmask_b32_e32 v21, 0, v21, vcc
	v_cmp_nlt_f32_e32 vcc, s57, v20
	v_cndmask_b32_e32 v20, v226, v21, vcc
	v_add_f32_e32 v20, 1.0, v20
	v_rcp_f32_e32 v20, v20
	v_fma_f32 v20, v20, -2.0, 1.0
.LBB22_38:                              ;   in Loop: Header=BB22_18 Depth=1
	s_andn2_saveexec_b64 s[18:19], s[18:19]
; %bb.39:                               ;   in Loop: Header=BB22_18 Depth=1
	v_mul_f32_e32 v20, v19, v19
	v_mov_b32_e32 v21, 0x3ca908c9
	v_fmac_f32_e32 v21, 0xbbbac73d, v20
	v_fma_f32 v21, v20, v21, v223
	v_fma_f32 v21, v20, v21, v224
	v_fma_f32 v21, v20, v21, v225
	v_mul_f32_e64 v21, |v19|, v21
	v_fma_f32 v20, v20, v21, |v19|
; %bb.40:                               ;   in Loop: Header=BB22_18 Depth=1
	s_or_b64 exec, exec, s[18:19]
	v_bfi_b32 v19, s58, v20, v19
	s_and_b64 vcc, exec, s[14:15]
	v_mul_f32_e32 v19, s39, v19
	s_cbranch_vccnz .LBB22_42
; %bb.41:                               ;   in Loop: Header=BB22_18 Depth=1
	v_mov_b32_e32 v21, s49
	v_add_co_u32_e32 v20, vcc, s38, v52
	v_addc_co_u32_e32 v21, vcc, v53, v21, vcc
	global_load_ushort v20, v[20:21], off offset:2
	s_waitcnt vmcnt(0)
	v_fma_mix_f32 v19, v214, v20, v19 op_sel_hi:[0,1,0]
.LBB22_42:                              ;   in Loop: Header=BB22_18 Depth=1
	v_mov_b32_e32 v20, s27
	v_add_co_u32_e32 v26, vcc, s23, v68
	v_addc_co_u32_e32 v27, vcc, v69, v20, vcc
	v_add_co_u32_e32 v28, vcc, s23, v66
	v_addc_co_u32_e32 v29, vcc, v67, v20, vcc
	global_load_dword v21, v[26:27], off
	global_load_ushort v20, v[26:27], off offset:4
	global_load_dword v25, v[28:29], off offset:6
	global_load_dword v22, v[26:27], off offset:22
	global_load_ushort v30, v[26:27], off offset:26
	global_load_dword v31, v[28:29], off offset:28
	global_load_dword v23, v[26:27], off offset:44
	;; [unrolled: 3-line block ×3, first 2 shown]
	global_load_ushort v227, v[26:27], off offset:70
	global_load_dword v228, v[28:29], off offset:72
	s_waitcnt vmcnt(10)
	v_perm_b32 v20, v21, v20, s53
	s_waitcnt vmcnt(9)
	v_and_b32_e32 v26, 0xf0f0f0f, v25
	v_lshrrev_b32_e32 v25, 4, v25
	s_waitcnt vmcnt(7)
	v_perm_b32 v27, v22, v30, s53
	s_waitcnt vmcnt(6)
	v_and_b32_e32 v28, 0xf0f0f0f, v31
	v_lshrrev_b32_e32 v29, 4, v31
	;; [unrolled: 5-line block ×3, first 2 shown]
	v_ashrrev_i32_e32 v207, v32, v20
	v_ashrrev_i32_e32 v20, v33, v20
	;; [unrolled: 1-line block ×5, first 2 shown]
	v_lshlrev_b32_e32 v30, 4, v207
	v_lshlrev_b32_e32 v232, 11, v207
	;; [unrolled: 1-line block ×4, first 2 shown]
	v_ashrrev_i32_e32 v27, v33, v27
	v_lshlrev_b32_e32 v234, 4, v20
	v_lshlrev_b32_e32 v235, 11, v20
	;; [unrolled: 1-line block ×12, first 2 shown]
	v_and_b32_e32 v233, 0x100000, v233
	v_and_b32_e32 v207, 0x10000000, v207
	;; [unrolled: 1-line block ×3, first 2 shown]
	v_lshlrev_b32_e32 v240, 4, v27
	v_lshlrev_b32_e32 v241, 11, v27
	;; [unrolled: 1-line block ×4, first 2 shown]
	v_and_b32_e32 v30, 16, v30
	v_and_b32_e32 v232, 0x1000, v232
	;; [unrolled: 1-line block ×8, first 2 shown]
	v_or3_b32 v26, v207, v26, v233
	v_and_b32_e32 v29, 0xf0f0f0f, v29
	v_and_b32_e32 v234, 16, v234
	;; [unrolled: 1-line block ×9, first 2 shown]
	v_or3_b32 v20, v20, v25, v236
	v_or3_b32 v25, v229, v28, v239
	;; [unrolled: 1-line block ×4, first 2 shown]
	v_and_b32_e32 v26, 0xf0f0f0f, v206
	v_lshlrev_b32_e32 v206, 18, v231
	v_lshlrev_b32_e32 v207, 25, v231
	v_or3_b32 v27, v27, v29, v242
	v_or3_b32 v30, v20, v234, v235
	;; [unrolled: 1-line block ×4, first 2 shown]
	v_lshlrev_b32_e32 v20, 4, v231
	v_lshlrev_b32_e32 v28, 11, v231
	v_and_b32_e32 v206, 0x100000, v206
	v_and_b32_e32 v207, 0x10000000, v207
	;; [unrolled: 1-line block ×4, first 2 shown]
	v_or3_b32 v26, v207, v26, v206
	v_or3_b32 v26, v26, v20, v28
	s_waitcnt vmcnt(1)
	v_perm_b32 v20, v24, v227, s53
	v_ashrrev_i32_e32 v28, v32, v20
	v_lshlrev_b32_e32 v206, 4, v28
	v_lshlrev_b32_e32 v227, 11, v28
	;; [unrolled: 1-line block ×4, first 2 shown]
	s_waitcnt vmcnt(0)
	v_and_b32_e32 v207, 0xf0f0f0f, v228
	v_and_b32_e32 v229, 0x100000, v229
	;; [unrolled: 1-line block ×5, first 2 shown]
	v_or3_b32 v28, v28, v207, v229
	v_ashrrev_i32_e32 v20, v33, v20
	v_or3_b32 v28, v28, v206, v227
	v_lshrrev_b32_e32 v206, 4, v228
	v_lshlrev_b32_e32 v207, 4, v20
	v_lshlrev_b32_e32 v227, 11, v20
	;; [unrolled: 1-line block ×4, first 2 shown]
	v_and_b32_e32 v206, 0xf0f0f0f, v206
	v_and_b32_e32 v228, 0x100000, v228
	;; [unrolled: 1-line block ×3, first 2 shown]
	v_or3_b32 v20, v20, v206, v228
	v_mov_b32_e32 v206, 0
	v_dot4c_i32_i8_e32 v206, v31, v34
	v_and_b32_e32 v207, 16, v207
	v_and_b32_e32 v227, 0x1000, v227
	;; [unrolled: 1-line block ×3, first 2 shown]
	v_cvt_f32_i32_e32 v228, v206
	v_mov_b32_e32 v206, 0
	v_dot4c_i32_i8_e32 v206, v30, v35
	v_and_b32_e32 v241, 0x1000, v241
	v_or3_b32 v27, v27, v240, v241
	s_nop 0
	v_cvt_f32_i32_e32 v229, v206
	v_or3_b32 v206, v20, v207, v227
	v_mov_b32_e32 v227, 0
	v_fma_f32 v20, v0, v228, -v222
	v_dot4c_i32_i8_e32 v227, v29, v36
	v_mov_b32_e32 v228, 0
	v_dot4c_i32_i8_e32 v228, v27, v37
	v_fma_mix_f32 v20, v20, v21, 0 op_sel_hi:[0,1,0]
	v_cvt_f32_i32_e32 v227, v227
	v_fma_f32 v207, v0, v229, -v222
	v_cvt_f32_i32_e32 v228, v228
	v_fma_mix_f32 v20, v207, v21, v20 op_sel_hi:[0,1,0]
	v_fma_f32 v207, v2, v227, -v3
	v_mov_b32_e32 v227, 0
	v_fma_mix_f32 v20, v207, v22, v20 op_sel_hi:[0,1,0]
	v_fma_f32 v207, v2, v228, -v3
	v_dot4c_i32_i8_e32 v227, v25, v38
	v_mov_b32_e32 v228, 0
	v_dot4c_i32_i8_e32 v228, v26, v39
	v_fma_mix_f32 v20, v207, v22, v20 op_sel_hi:[0,1,0]
	v_cvt_f32_i32_e32 v227, v227
	v_fma_f32 v207, v4, v227, -v5
	v_cvt_f32_i32_e32 v228, v228
	v_mov_b32_e32 v227, 0
	v_fma_mix_f32 v20, v207, v23, v20 op_sel_hi:[0,1,0]
	v_dot4c_i32_i8_e32 v227, v28, v40
	v_fma_f32 v207, v4, v228, -v5
	v_mov_b32_e32 v228, 0
	v_dot4c_i32_i8_e32 v228, v206, v41
	v_cvt_f32_i32_e32 v227, v227
	v_fma_mix_f32 v20, v207, v23, v20 op_sel_hi:[0,1,0]
	v_fma_f32 v207, v6, v227, -v7
	v_cvt_f32_i32_e32 v228, v228
	v_fma_mix_f32 v20, v207, v24, v20 op_sel_hi:[0,1,0]
	v_fma_f32 v207, v6, v228, -v7
	v_fma_mix_f32 v20, v207, v24, v20 op_sel_hi:[0,1,0]
	ds_bpermute_b32 v207, v216, v20
	s_waitcnt lgkmcnt(0)
	v_add_f32_e32 v20, v20, v207
	ds_bpermute_b32 v207, v217, v20
	s_waitcnt lgkmcnt(0)
	v_add_f32_e32 v20, v20, v207
	v_cmp_nlt_f32_e64 s[18:19], |v20|, s54
                                        ; implicit-def: $vgpr207
	s_and_saveexec_b64 s[20:21], s[18:19]
	s_xor_b64 s[18:19], exec, s[20:21]
	s_cbranch_execz .LBB22_44
; %bb.43:                               ;   in Loop: Header=BB22_18 Depth=1
	v_add_f32_e64 v207, |v20|, |v20|
	v_mul_f32_e32 v227, 0x3fb8aa3b, v207
	v_rndne_f32_e32 v228, v227
	v_sub_f32_e32 v229, v227, v228
	v_fma_f32 v227, v207, s55, -v227
	v_fmac_f32_e32 v227, 0x32a5705f, v207
	v_add_f32_e32 v227, v229, v227
	v_cvt_i32_f32_e32 v228, v228
	v_exp_f32_e32 v227, v227
	v_cmp_ngt_f32_e32 vcc, s56, v207
	v_ldexp_f32 v227, v227, v228
	v_cndmask_b32_e32 v227, 0, v227, vcc
	v_cmp_nlt_f32_e32 vcc, s57, v207
	v_cndmask_b32_e32 v207, v226, v227, vcc
	v_add_f32_e32 v207, 1.0, v207
	v_rcp_f32_e32 v207, v207
	v_fma_f32 v207, v207, -2.0, 1.0
.LBB22_44:                              ;   in Loop: Header=BB22_18 Depth=1
	s_andn2_saveexec_b64 s[18:19], s[18:19]
; %bb.45:                               ;   in Loop: Header=BB22_18 Depth=1
	v_mul_f32_e32 v207, v20, v20
	v_mov_b32_e32 v227, 0x3ca908c9
	v_fmac_f32_e32 v227, 0xbbbac73d, v207
	v_fma_f32 v227, v207, v227, v223
	v_fma_f32 v227, v207, v227, v224
	;; [unrolled: 1-line block ×3, first 2 shown]
	v_mul_f32_e64 v227, |v20|, v227
	v_fma_f32 v207, v207, v227, |v20|
; %bb.46:                               ;   in Loop: Header=BB22_18 Depth=1
	s_or_b64 exec, exec, s[18:19]
	v_bfi_b32 v20, s58, v207, v20
	s_and_b64 vcc, exec, s[12:13]
	v_mul_f32_e32 v20, s39, v20
	s_cbranch_vccnz .LBB22_48
; %bb.47:                               ;   in Loop: Header=BB22_18 Depth=1
	v_mov_b32_e32 v207, s49
	v_add_co_u32_e32 v228, vcc, s38, v202
	v_addc_co_u32_e32 v229, vcc, v1, v207, vcc
	global_load_ushort v207, v[228:229], off offset:4
	s_waitcnt vmcnt(0)
	v_fma_mix_f32 v20, v214, v207, v20 op_sel_hi:[0,1,0]
.LBB22_48:                              ;   in Loop: Header=BB22_18 Depth=1
	v_mov_b32_e32 v207, 0
	v_dot4c_i32_i8_e32 v207, v31, v42
	v_cvt_f32_f16_e32 v21, v21
	v_cvt_f32_f16_e32 v22, v22
	;; [unrolled: 1-line block ×3, first 2 shown]
	v_cvt_f32_i32_e32 v31, v207
	v_mov_b32_e32 v207, 0
	v_dot4c_i32_i8_e32 v207, v30, v43
	v_cvt_f32_f16_e32 v24, v24
	v_fma_f32 v31, v8, v31, -v9
	v_fma_f32 v31, v31, v21, 0
	v_cvt_f32_i32_e32 v30, v207
	v_mov_b32_e32 v207, 0
	v_dot4c_i32_i8_e32 v207, v29, v44
	v_fma_f32 v30, v8, v30, -v9
	v_fmac_f32_e32 v31, v30, v21
	s_nop 0
	v_cvt_f32_i32_e32 v29, v207
	v_mov_b32_e32 v207, 0
	v_dot4c_i32_i8_e32 v207, v27, v45
	v_fma_f32 v21, v10, v29, -v11
	v_fmac_f32_e32 v31, v21, v22
	s_nop 0
	v_cvt_f32_i32_e32 v27, v207
	v_fma_f32 v21, v10, v27, -v11
	v_mov_b32_e32 v27, 0
	v_dot4c_i32_i8_e32 v27, v25, v46
	v_fmac_f32_e32 v31, v21, v22
	v_mov_b32_e32 v22, 0
	v_dot4c_i32_i8_e32 v22, v28, v48
	v_cvt_f32_i32_e32 v25, v27
	v_mov_b32_e32 v27, 0
	v_dot4c_i32_i8_e32 v27, v26, v47
	v_cvt_f32_i32_e32 v22, v22
	v_fma_f32 v21, v12, v25, -v13
	v_mov_b32_e32 v25, 0
	v_cvt_f32_i32_e32 v26, v27
	v_dot4c_i32_i8_e32 v25, v206, v49
	v_fmac_f32_e32 v31, v21, v23
	v_fma_f32 v21, v12, v26, -v13
	s_nop 0
	v_cvt_f32_i32_e32 v25, v25
	v_fmac_f32_e32 v31, v21, v23
	v_fma_f32 v21, v14, v22, -v15
	v_fmac_f32_e32 v31, v21, v24
	v_fma_f32 v21, v14, v25, -v15
	v_fmac_f32_e32 v31, v21, v24
	ds_bpermute_b32 v21, v216, v31
	s_waitcnt lgkmcnt(0)
	v_add_f32_e32 v21, v31, v21
	ds_bpermute_b32 v22, v217, v21
	s_waitcnt lgkmcnt(0)
	v_add_f32_e32 v21, v21, v22
	v_cmp_nlt_f32_e64 s[18:19], |v21|, s54
                                        ; implicit-def: $vgpr22
	s_and_saveexec_b64 s[20:21], s[18:19]
	s_xor_b64 s[18:19], exec, s[20:21]
	s_cbranch_execz .LBB22_50
; %bb.49:                               ;   in Loop: Header=BB22_18 Depth=1
	v_add_f32_e64 v22, |v21|, |v21|
	v_mul_f32_e32 v23, 0x3fb8aa3b, v22
	v_rndne_f32_e32 v24, v23
	v_sub_f32_e32 v25, v23, v24
	v_fma_f32 v23, v22, s55, -v23
	v_fmac_f32_e32 v23, 0x32a5705f, v22
	v_add_f32_e32 v23, v25, v23
	v_cvt_i32_f32_e32 v24, v24
	v_exp_f32_e32 v23, v23
	v_cmp_ngt_f32_e32 vcc, s56, v22
	v_ldexp_f32 v23, v23, v24
	v_cndmask_b32_e32 v23, 0, v23, vcc
	v_cmp_nlt_f32_e32 vcc, s57, v22
	v_cndmask_b32_e32 v22, v226, v23, vcc
	v_add_f32_e32 v22, 1.0, v22
	v_rcp_f32_e32 v22, v22
	v_fma_f32 v22, v22, -2.0, 1.0
.LBB22_50:                              ;   in Loop: Header=BB22_18 Depth=1
	s_andn2_saveexec_b64 s[18:19], s[18:19]
; %bb.51:                               ;   in Loop: Header=BB22_18 Depth=1
	v_mul_f32_e32 v22, v21, v21
	v_mov_b32_e32 v23, 0x3ca908c9
	v_fmac_f32_e32 v23, 0xbbbac73d, v22
	v_fma_f32 v23, v22, v23, v223
	v_fma_f32 v23, v22, v23, v224
	;; [unrolled: 1-line block ×3, first 2 shown]
	v_mul_f32_e64 v23, |v21|, v23
	v_fma_f32 v22, v22, v23, |v21|
; %bb.52:                               ;   in Loop: Header=BB22_18 Depth=1
	s_or_b64 exec, exec, s[18:19]
	v_bfi_b32 v21, s58, v22, v21
	s_and_b64 vcc, exec, s[14:15]
	v_mul_f32_e32 v21, s39, v21
	s_cbranch_vccnz .LBB22_54
; %bb.53:                               ;   in Loop: Header=BB22_18 Depth=1
	v_mov_b32_e32 v23, s49
	v_add_co_u32_e32 v22, vcc, s38, v52
	v_addc_co_u32_e32 v23, vcc, v53, v23, vcc
	global_load_ushort v22, v[22:23], off offset:4
	s_waitcnt vmcnt(0)
	v_fma_mix_f32 v21, v214, v22, v21 op_sel_hi:[0,1,0]
.LBB22_54:                              ;   in Loop: Header=BB22_18 Depth=1
	v_mov_b32_e32 v22, s27
	v_add_co_u32_e32 v26, vcc, s23, v60
	v_addc_co_u32_e32 v27, vcc, v61, v22, vcc
	v_add_co_u32_e32 v28, vcc, s23, v58
	v_addc_co_u32_e32 v29, vcc, v59, v22, vcc
	global_load_dword v22, v[26:27], off
	global_load_ushort v30, v[26:27], off offset:4
	global_load_dword v31, v[28:29], off offset:6
	global_load_dword v23, v[26:27], off offset:22
	global_load_ushort v206, v[26:27], off offset:26
	global_load_dword v207, v[28:29], off offset:28
	global_load_dword v24, v[26:27], off offset:44
	;; [unrolled: 3-line block ×3, first 2 shown]
	global_load_ushort v229, v[26:27], off offset:70
	global_load_dword v230, v[28:29], off offset:72
	s_waitcnt vmcnt(10)
	v_perm_b32 v26, v22, v30, s53
	s_waitcnt vmcnt(9)
	v_and_b32_e32 v27, 0xf0f0f0f, v31
	v_lshrrev_b32_e32 v28, 4, v31
	s_waitcnt vmcnt(7)
	v_perm_b32 v29, v23, v206, s53
	s_waitcnt vmcnt(6)
	v_and_b32_e32 v30, 0xf0f0f0f, v207
	v_lshrrev_b32_e32 v31, 4, v207
	s_waitcnt vmcnt(4)
	v_perm_b32 v206, v24, v227, s53
	s_waitcnt vmcnt(3)
	v_and_b32_e32 v207, 0xf0f0f0f, v228
	v_lshrrev_b32_e32 v227, 4, v228
	v_ashrrev_i32_e32 v228, v32, v26
	v_ashrrev_i32_e32 v26, v33, v26
	;; [unrolled: 1-line block ×5, first 2 shown]
	v_lshlrev_b32_e32 v236, 4, v26
	v_lshlrev_b32_e32 v237, 11, v26
	;; [unrolled: 1-line block ×12, first 2 shown]
	v_and_b32_e32 v28, 0xf0f0f0f, v28
	v_and_b32_e32 v31, 0xf0f0f0f, v31
	v_ashrrev_i32_e32 v233, v33, v206
	v_lshlrev_b32_e32 v206, 4, v228
	v_lshlrev_b32_e32 v234, 11, v228
	;; [unrolled: 1-line block ×8, first 2 shown]
	v_and_b32_e32 v238, 0x100000, v238
	v_and_b32_e32 v26, 0x10000000, v26
	;; [unrolled: 1-line block ×14, first 2 shown]
	v_or3_b32 v26, v26, v28, v238
	v_or3_b32 v28, v231, v30, v241
	;; [unrolled: 1-line block ×3, first 2 shown]
	v_and_b32_e32 v206, 16, v206
	v_and_b32_e32 v234, 0x1000, v234
	;; [unrolled: 1-line block ×6, first 2 shown]
	v_or3_b32 v27, v228, v27, v235
	v_or3_b32 v31, v232, v207, v247
	;; [unrolled: 1-line block ×4, first 2 shown]
	v_and_b32_e32 v29, 0xf0f0f0f, v227
	v_lshlrev_b32_e32 v227, 18, v233
	v_lshlrev_b32_e32 v228, 25, v233
	v_or3_b32 v207, v27, v206, v234
	v_or3_b32 v206, v26, v236, v237
	;; [unrolled: 1-line block ×3, first 2 shown]
	v_lshlrev_b32_e32 v27, 4, v233
	v_lshlrev_b32_e32 v31, 11, v233
	v_and_b32_e32 v227, 0x100000, v227
	v_and_b32_e32 v228, 0x10000000, v228
	;; [unrolled: 1-line block ×4, first 2 shown]
	v_or3_b32 v29, v228, v29, v227
	v_or3_b32 v27, v29, v27, v31
	s_waitcnt vmcnt(1)
	v_perm_b32 v31, v25, v229, s53
	v_ashrrev_i32_e32 v29, v32, v31
	v_lshlrev_b32_e32 v227, 4, v29
	v_lshlrev_b32_e32 v229, 11, v29
	;; [unrolled: 1-line block ×4, first 2 shown]
	s_waitcnt vmcnt(0)
	v_and_b32_e32 v228, 0xf0f0f0f, v230
	v_and_b32_e32 v231, 0x100000, v231
	;; [unrolled: 1-line block ×5, first 2 shown]
	v_or3_b32 v29, v29, v228, v231
	v_ashrrev_i32_e32 v31, v33, v31
	v_or3_b32 v29, v29, v227, v229
	v_lshrrev_b32_e32 v227, 4, v230
	v_lshlrev_b32_e32 v228, 4, v31
	v_lshlrev_b32_e32 v229, 11, v31
	;; [unrolled: 1-line block ×4, first 2 shown]
	v_and_b32_e32 v227, 0xf0f0f0f, v227
	v_and_b32_e32 v230, 0x100000, v230
	;; [unrolled: 1-line block ×3, first 2 shown]
	v_or3_b32 v31, v31, v227, v230
	v_mov_b32_e32 v227, 0
	v_dot4c_i32_i8_e32 v227, v207, v34
	v_and_b32_e32 v228, 16, v228
	v_and_b32_e32 v229, 0x1000, v229
	s_nop 0
	v_cvt_f32_i32_e32 v230, v227
	v_mov_b32_e32 v227, 0
	v_dot4c_i32_i8_e32 v227, v206, v35
	s_nop 2
	v_cvt_f32_i32_e32 v231, v227
	v_or3_b32 v227, v31, v228, v229
	v_mov_b32_e32 v229, 0
	v_fma_f32 v31, v0, v230, -v222
	v_dot4c_i32_i8_e32 v229, v30, v36
	v_mov_b32_e32 v230, 0
	v_dot4c_i32_i8_e32 v230, v28, v37
	v_fma_mix_f32 v31, v31, v22, 0 op_sel_hi:[0,1,0]
	v_cvt_f32_i32_e32 v229, v229
	v_fma_f32 v228, v0, v231, -v222
	v_cvt_f32_i32_e32 v230, v230
	v_fma_mix_f32 v31, v228, v22, v31 op_sel_hi:[0,1,0]
	v_fma_f32 v228, v2, v229, -v3
	v_mov_b32_e32 v229, 0
	v_fma_mix_f32 v31, v228, v23, v31 op_sel_hi:[0,1,0]
	v_fma_f32 v228, v2, v230, -v3
	v_dot4c_i32_i8_e32 v229, v26, v38
	v_mov_b32_e32 v230, 0
	v_dot4c_i32_i8_e32 v230, v27, v39
	v_fma_mix_f32 v31, v228, v23, v31 op_sel_hi:[0,1,0]
	v_cvt_f32_i32_e32 v229, v229
	v_fma_f32 v228, v4, v229, -v5
	v_cvt_f32_i32_e32 v230, v230
	v_mov_b32_e32 v229, 0
	v_fma_mix_f32 v31, v228, v24, v31 op_sel_hi:[0,1,0]
	v_dot4c_i32_i8_e32 v229, v29, v40
	v_fma_f32 v228, v4, v230, -v5
	v_mov_b32_e32 v230, 0
	v_dot4c_i32_i8_e32 v230, v227, v41
	v_cvt_f32_i32_e32 v229, v229
	v_fma_mix_f32 v31, v228, v24, v31 op_sel_hi:[0,1,0]
	v_fma_f32 v228, v6, v229, -v7
	v_cvt_f32_i32_e32 v230, v230
	v_fma_mix_f32 v31, v228, v25, v31 op_sel_hi:[0,1,0]
	v_fma_f32 v228, v6, v230, -v7
	v_fma_mix_f32 v31, v228, v25, v31 op_sel_hi:[0,1,0]
	ds_bpermute_b32 v228, v216, v31
	s_waitcnt lgkmcnt(0)
	v_add_f32_e32 v31, v31, v228
	ds_bpermute_b32 v228, v217, v31
	s_waitcnt lgkmcnt(0)
	v_add_f32_e32 v31, v31, v228
	v_cmp_nlt_f32_e64 s[18:19], |v31|, s54
                                        ; implicit-def: $vgpr228
	s_and_saveexec_b64 s[20:21], s[18:19]
	s_xor_b64 s[18:19], exec, s[20:21]
	s_cbranch_execz .LBB22_56
; %bb.55:                               ;   in Loop: Header=BB22_18 Depth=1
	v_add_f32_e64 v228, |v31|, |v31|
	v_mul_f32_e32 v229, 0x3fb8aa3b, v228
	v_rndne_f32_e32 v230, v229
	v_sub_f32_e32 v231, v229, v230
	v_fma_f32 v229, v228, s55, -v229
	v_fmac_f32_e32 v229, 0x32a5705f, v228
	v_add_f32_e32 v229, v231, v229
	v_cvt_i32_f32_e32 v230, v230
	v_exp_f32_e32 v229, v229
	v_cmp_ngt_f32_e32 vcc, s56, v228
	v_ldexp_f32 v229, v229, v230
	v_cndmask_b32_e32 v229, 0, v229, vcc
	v_cmp_nlt_f32_e32 vcc, s57, v228
	v_cndmask_b32_e32 v228, v226, v229, vcc
	v_add_f32_e32 v228, 1.0, v228
	v_rcp_f32_e32 v228, v228
	v_fma_f32 v228, v228, -2.0, 1.0
.LBB22_56:                              ;   in Loop: Header=BB22_18 Depth=1
	s_andn2_saveexec_b64 s[18:19], s[18:19]
; %bb.57:                               ;   in Loop: Header=BB22_18 Depth=1
	v_mul_f32_e32 v228, v31, v31
	v_mov_b32_e32 v229, 0x3ca908c9
	v_fmac_f32_e32 v229, 0xbbbac73d, v228
	v_fma_f32 v229, v228, v229, v223
	v_fma_f32 v229, v228, v229, v224
	;; [unrolled: 1-line block ×3, first 2 shown]
	v_mul_f32_e64 v229, |v31|, v229
	v_fma_f32 v228, v228, v229, |v31|
; %bb.58:                               ;   in Loop: Header=BB22_18 Depth=1
	s_or_b64 exec, exec, s[18:19]
	v_bfi_b32 v31, s58, v228, v31
	s_and_b64 vcc, exec, s[12:13]
	v_mul_f32_e32 v31, s39, v31
	s_cbranch_vccnz .LBB22_60
; %bb.59:                               ;   in Loop: Header=BB22_18 Depth=1
	v_mov_b32_e32 v229, s49
	v_add_co_u32_e32 v228, vcc, s38, v202
	v_addc_co_u32_e32 v229, vcc, v1, v229, vcc
	global_load_ushort v228, v[228:229], off offset:6
	s_waitcnt vmcnt(0)
	v_fma_mix_f32 v31, v214, v228, v31 op_sel_hi:[0,1,0]
.LBB22_60:                              ;   in Loop: Header=BB22_18 Depth=1
	v_mov_b32_e32 v228, 0
	v_dot4c_i32_i8_e32 v228, v207, v42
	v_cvt_f32_f16_e32 v22, v22
	v_cvt_f32_f16_e32 v23, v23
	;; [unrolled: 1-line block ×3, first 2 shown]
	v_cvt_f32_i32_e32 v207, v228
	v_mov_b32_e32 v228, 0
	v_dot4c_i32_i8_e32 v228, v206, v43
	v_cvt_f32_f16_e32 v25, v25
	v_fma_f32 v207, v8, v207, -v9
	v_fma_f32 v207, v207, v22, 0
	v_cvt_f32_i32_e32 v206, v228
	v_mov_b32_e32 v228, 0
	v_dot4c_i32_i8_e32 v228, v30, v44
	v_fma_f32 v206, v8, v206, -v9
	v_fmac_f32_e32 v207, v206, v22
	s_nop 0
	v_cvt_f32_i32_e32 v30, v228
	v_mov_b32_e32 v228, 0
	v_dot4c_i32_i8_e32 v228, v28, v45
	v_fma_f32 v22, v10, v30, -v11
	v_fmac_f32_e32 v207, v22, v23
	s_nop 0
	v_cvt_f32_i32_e32 v28, v228
	v_fma_f32 v22, v10, v28, -v11
	v_mov_b32_e32 v28, 0
	v_dot4c_i32_i8_e32 v28, v26, v46
	v_fmac_f32_e32 v207, v22, v23
	v_mov_b32_e32 v23, 0
	v_dot4c_i32_i8_e32 v23, v29, v48
	v_cvt_f32_i32_e32 v26, v28
	v_mov_b32_e32 v28, 0
	v_dot4c_i32_i8_e32 v28, v27, v47
	v_cvt_f32_i32_e32 v23, v23
	v_fma_f32 v22, v12, v26, -v13
	v_mov_b32_e32 v26, 0
	v_cvt_f32_i32_e32 v27, v28
	v_dot4c_i32_i8_e32 v26, v227, v49
	v_fmac_f32_e32 v207, v22, v24
	v_fma_f32 v22, v12, v27, -v13
	s_nop 0
	v_cvt_f32_i32_e32 v26, v26
	v_fmac_f32_e32 v207, v22, v24
	v_fma_f32 v22, v14, v23, -v15
	v_fmac_f32_e32 v207, v22, v25
	v_fma_f32 v22, v14, v26, -v15
	v_fmac_f32_e32 v207, v22, v25
	ds_bpermute_b32 v22, v216, v207
	s_waitcnt lgkmcnt(0)
	v_add_f32_e32 v22, v207, v22
	ds_bpermute_b32 v23, v217, v22
	s_waitcnt lgkmcnt(0)
	v_add_f32_e32 v22, v22, v23
	v_cmp_nlt_f32_e64 s[12:13], |v22|, s54
                                        ; implicit-def: $vgpr23
	s_and_saveexec_b64 s[18:19], s[12:13]
	s_xor_b64 s[12:13], exec, s[18:19]
	s_cbranch_execz .LBB22_62
; %bb.61:                               ;   in Loop: Header=BB22_18 Depth=1
	v_add_f32_e64 v23, |v22|, |v22|
	v_mul_f32_e32 v24, 0x3fb8aa3b, v23
	v_rndne_f32_e32 v25, v24
	v_sub_f32_e32 v26, v24, v25
	v_fma_f32 v24, v23, s55, -v24
	v_fmac_f32_e32 v24, 0x32a5705f, v23
	v_add_f32_e32 v24, v26, v24
	v_cvt_i32_f32_e32 v25, v25
	v_exp_f32_e32 v24, v24
	v_cmp_ngt_f32_e32 vcc, s56, v23
	v_ldexp_f32 v24, v24, v25
	v_cndmask_b32_e32 v24, 0, v24, vcc
	v_cmp_nlt_f32_e32 vcc, s57, v23
	v_cndmask_b32_e32 v23, v226, v24, vcc
	v_add_f32_e32 v23, 1.0, v23
	v_rcp_f32_e32 v23, v23
	v_fma_f32 v23, v23, -2.0, 1.0
.LBB22_62:                              ;   in Loop: Header=BB22_18 Depth=1
	s_andn2_saveexec_b64 s[12:13], s[12:13]
; %bb.63:                               ;   in Loop: Header=BB22_18 Depth=1
	v_mul_f32_e32 v23, v22, v22
	v_mov_b32_e32 v24, 0x3ca908c9
	v_fmac_f32_e32 v24, 0xbbbac73d, v23
	v_fma_f32 v24, v23, v24, v223
	v_fma_f32 v24, v23, v24, v224
	;; [unrolled: 1-line block ×3, first 2 shown]
	v_mul_f32_e64 v24, |v22|, v24
	v_fma_f32 v23, v23, v24, |v22|
; %bb.64:                               ;   in Loop: Header=BB22_18 Depth=1
	s_or_b64 exec, exec, s[12:13]
	v_bfi_b32 v22, s58, v23, v22
	s_and_b64 vcc, exec, s[14:15]
	v_mul_f32_e32 v22, s39, v22
	s_cbranch_vccnz .LBB22_17
; %bb.65:                               ;   in Loop: Header=BB22_18 Depth=1
	v_mov_b32_e32 v23, s49
	v_add_co_u32_e32 v24, vcc, s38, v52
	v_addc_co_u32_e32 v25, vcc, v53, v23, vcc
	global_load_ushort v23, v[24:25], off offset:6
	s_waitcnt vmcnt(0)
	v_fma_mix_f32 v22, v214, v23, v22 op_sel_hi:[0,1,0]
	s_branch .LBB22_17
.LBB22_66:
	s_cmp_eq_u64 s[24:25], 0
	s_cselect_b64 s[2:3], -1, 0
	s_cmp_lg_u32 s9, 0
	s_cselect_b64 s[4:5], -1, 0
	s_or_b64 s[2:3], s[4:5], s[2:3]
	s_or_b64 s[0:1], s[0:1], s[2:3]
	s_xor_b64 s[0:1], s[0:1], -1
	s_and_saveexec_b64 s[2:3], s[0:1]
	s_cbranch_execz .LBB22_68
; %bb.67:
	s_ashr_i32 s37, s36, 31
	s_lshl_b64 s[0:1], s[36:37], 2
	s_add_u32 s0, s24, s0
	s_addc_u32 s1, s25, s1
	s_load_dword s4, s[0:1], 0x0
	v_cmp_eq_u32_e32 vcc, 1, v208
	v_cndmask_b32_e32 v0, v56, v57, vcc
	v_max_f32_e32 v1, v0, v0
	s_mov_b32 s5, 0x3fb8aa3b
	s_waitcnt lgkmcnt(0)
	v_max_f32_e64 v2, s4, s4
	v_max_f32_e32 v2, v2, v1
	v_sub_f32_e32 v0, v0, v2
	v_mul_f32_e32 v1, 0x3fb8aa3b, v0
	v_fma_f32 v3, v0, s5, -v1
	v_rndne_f32_e32 v4, v1
	v_fmac_f32_e32 v3, 0x32a5705f, v0
	v_sub_f32_e32 v1, v1, v4
	v_add_f32_e32 v1, v1, v3
	v_cvt_i32_f32_e32 v3, v4
	v_sub_f32_e32 v4, s4, v2
	v_mul_f32_e32 v5, 0x3fb8aa3b, v4
	v_fma_f32 v6, v4, s5, -v5
	v_rndne_f32_e32 v7, v5
	v_exp_f32_e32 v1, v1
	v_fmac_f32_e32 v6, 0x32a5705f, v4
	v_sub_f32_e32 v5, v5, v7
	v_add_f32_e32 v5, v5, v6
	v_exp_f32_e32 v5, v5
	v_cvt_i32_f32_e32 v6, v7
	s_mov_b32 s8, 0xc2ce8ed0
	v_ldexp_f32 v1, v1, v3
	v_cmp_ngt_f32_e64 s[0:1], s8, v0
	s_mov_b32 s10, 0x42b17218
	v_cndmask_b32_e64 v1, 0, v1, s[0:1]
	v_mov_b32_e32 v3, 0x7f800000
	v_cmp_nlt_f32_e64 s[0:1], s10, v0
	v_cndmask_b32_e64 v7, v3, v1, s[0:1]
	v_ldexp_f32 v0, v5, v6
	v_cmp_ngt_f32_e64 s[0:1], s8, v4
	v_cndmask_b32_e64 v0, 0, v0, s[0:1]
	v_cmp_nlt_f32_e64 s[0:1], s10, v4
	v_lshl_add_u32 v4, v208, 3, v212
	v_cndmask_b32_e64 v3, v3, v0, s[0:1]
	ds_read_b64 v[0:1], v4
	v_cvt_f16_f32_e32 v5, v7
	v_cmp_eq_u32_e64 s[0:1], 0, v203
	v_cndmask_b32_e32 v8, v54, v55, vcc
	v_cndmask_b32_e64 v3, 0, v3, s[0:1]
	v_fmac_f32_e32 v3, v8, v7
	v_cmp_eq_u32_e64 s[0:1], 0, v208
	s_waitcnt lgkmcnt(0)
	v_pk_mul_f16 v0, v5, v0 op_sel_hi:[0,1]
	v_pk_mul_f16 v1, v5, v1 op_sel_hi:[0,1]
	v_cndmask_b32_e32 v57, v57, v2, vcc
	v_cndmask_b32_e64 v56, v56, v2, s[0:1]
	v_cndmask_b32_e32 v55, v55, v3, vcc
	v_cndmask_b32_e64 v54, v54, v3, s[0:1]
	ds_write_b64 v4, v[0:1]
.LBB22_68:
	s_or_b64 exec, exec, s[2:3]
	v_cmp_eq_u32_e32 vcc, 0, v208
	s_and_saveexec_b64 s[0:1], vcc
	s_cbranch_execz .LBB22_70
; %bb.69:
	v_mov_b32_e32 v0, 0xfeffffff
	v_add_u32_e32 v2, 0x400, v213
	v_mov_b32_e32 v1, 0
	ds_write2_b32 v2, v0, v0 offset1:32
	ds_write2_b32 v2, v1, v1 offset0:64 offset1:96
.LBB22_70:
	s_or_b64 exec, exec, s[0:1]
	v_cmp_eq_u32_e64 s[0:1], 0, v203
	s_waitcnt lgkmcnt(0)
	s_barrier
	s_and_saveexec_b64 s[2:3], s[0:1]
	s_cbranch_execz .LBB22_72
; %bb.71:
	v_lshlrev_b32_e32 v0, 2, v208
	v_add_u32_e32 v0, 0x400, v0
	ds_write2_b32 v0, v56, v57 offset1:32
.LBB22_72:
	s_or_b64 exec, exec, s[2:3]
	s_cmp_lt_i32 s33, s34
	s_waitcnt lgkmcnt(0)
	s_barrier
	s_cbranch_scc1 .LBB22_74
; %bb.73:
	s_load_dword s10, s[6:7], 0xd4
	s_mul_i32 s8, s52, s34
	s_cbranch_execz .LBB22_75
	s_branch .LBB22_83
.LBB22_74:
                                        ; implicit-def: $sgpr10
	s_mul_i32 s8, s52, s34
.LBB22_75:
	v_mbcnt_hi_u32_b32 v0, -1, v215
	v_and_b32_e32 v1, 0x60, v0
	ds_read_b32 v2, v213 offset:1024
	v_add_u32_e32 v1, 32, v1
	v_xor_b32_e32 v3, 16, v0
	v_cmp_lt_i32_e32 vcc, v3, v1
	v_cndmask_b32_e32 v3, v0, v3, vcc
	v_lshlrev_b32_e32 v4, 2, v3
	s_waitcnt lgkmcnt(0)
	ds_bpermute_b32 v3, v4, v2
	v_xor_b32_e32 v5, 8, v0
	v_cmp_lt_i32_e32 vcc, v5, v1
	v_cndmask_b32_e32 v5, v0, v5, vcc
	v_max_f32_e32 v2, v2, v2
	s_waitcnt lgkmcnt(0)
	v_max_f32_e32 v3, v3, v3
	v_lshlrev_b32_e32 v6, 2, v5
	v_max_f32_e32 v2, v2, v3
	ds_bpermute_b32 v3, v6, v2
	v_xor_b32_e32 v5, 4, v0
	v_cmp_lt_i32_e32 vcc, v5, v1
	v_cndmask_b32_e32 v5, v0, v5, vcc
	v_lshlrev_b32_e32 v5, 2, v5
	s_waitcnt lgkmcnt(0)
	v_max_f32_e32 v3, v3, v3
	v_max_f32_e32 v2, v2, v3
	ds_bpermute_b32 v3, v5, v2
	v_xor_b32_e32 v7, 2, v0
	v_cmp_lt_i32_e32 vcc, v7, v1
	v_cndmask_b32_e32 v7, v0, v7, vcc
	v_lshlrev_b32_e32 v8, 2, v7
	s_waitcnt lgkmcnt(0)
	v_max_f32_e32 v3, v3, v3
	;; [unrolled: 8-line block ×3, first 2 shown]
	v_max_f32_e32 v0, v2, v0
	ds_bpermute_b32 v1, v7, v0
	s_mov_b32 s2, 0x3fb8aa3b
	ds_read_b64 v[10:11], v212
	s_load_dword s10, s[6:7], 0xd4
	s_waitcnt lgkmcnt(0)
	v_max_f32_e32 v1, v1, v1
	v_max_f32_e32 v0, v0, v1
	v_sub_f32_e32 v1, v56, v0
	v_mul_f32_e32 v2, 0x3fb8aa3b, v1
	v_fma_f32 v3, v1, s2, -v2
	v_rndne_f32_e32 v9, v2
	v_fmac_f32_e32 v3, 0x32a5705f, v1
	v_sub_f32_e32 v2, v2, v9
	v_add_f32_e32 v2, v2, v3
	v_exp_f32_e32 v2, v2
	v_cvt_i32_f32_e32 v3, v9
	s_mov_b32 s2, 0xc2ce8ed0
	v_cmp_ngt_f32_e32 vcc, s2, v1
	s_mov_b32 s2, 0x42b17218
	v_ldexp_f32 v2, v2, v3
	v_cndmask_b32_e32 v2, 0, v2, vcc
	v_mov_b32_e32 v3, 0x7f800000
	v_cmp_nlt_f32_e32 vcc, s2, v1
	v_cndmask_b32_e32 v1, v3, v2, vcc
	v_mul_f32_e32 v2, v54, v1
	ds_bpermute_b32 v2, v4, v2
	v_cvt_f16_f32_e32 v12, v1
	v_lshlrev_b32_e32 v9, 3, v203
	v_add_u32_e32 v9, v209, v9
	s_waitcnt lgkmcnt(0)
	v_fmac_f32_e32 v2, v54, v1
	ds_bpermute_b32 v3, v6, v2
	v_pk_mul_f16 v10, v12, v10 op_sel_hi:[0,1]
	v_pk_mul_f16 v11, v12, v11 op_sel_hi:[0,1]
	ds_write_b64 v212, v[10:11]
	ds_write_b64 v9, v[10:11]
	s_waitcnt lgkmcnt(2)
	v_add_f32_e32 v2, v2, v3
	ds_bpermute_b32 v3, v5, v2
	s_waitcnt lgkmcnt(0)
	v_add_f32_e32 v2, v2, v3
	ds_bpermute_b32 v3, v8, v2
	;; [unrolled: 3-line block ×3, first 2 shown]
	s_and_saveexec_b64 s[2:3], s[0:1]
	s_cbranch_execz .LBB22_77
; %bb.76:
	s_waitcnt lgkmcnt(0)
	v_add_f32_e32 v1, v1, v2
	v_lshlrev_b32_e32 v2, 2, v208
	ds_write_b32 v2, v1 offset:1280
.LBB22_77:
	s_or_b64 exec, exec, s[2:3]
	s_waitcnt lgkmcnt(0)
	s_barrier
	ds_read_b32 v1, v213 offset:1280
	ds_read_u16 v2, v211
	ds_read_u16 v12, v211 offset:256
	ds_read_u16 v14, v211 offset:512
	;; [unrolled: 1-line block ×3, first 2 shown]
	s_waitcnt lgkmcnt(4)
	ds_bpermute_b32 v3, v4, v1
	s_waitcnt lgkmcnt(4)
	v_cvt_f32_f16_e32 v2, v2
	v_mov_b32_e32 v10, 0
	s_waitcnt lgkmcnt(3)
	v_cvt_f32_f16_e32 v12, v12
	s_cmp_eq_u32 s10, 1
	s_waitcnt lgkmcnt(0)
	v_add_f32_e32 v3, v1, v3
	ds_bpermute_b32 v11, v6, v3
	s_waitcnt lgkmcnt(0)
	v_pk_add_f32 v[2:3], v[2:3], v[10:11]
	ds_bpermute_b32 v13, v5, v3
	v_mov_b32_e32 v11, v10
	s_waitcnt lgkmcnt(0)
	v_pk_add_f32 v[2:3], v[2:3], v[12:13]
	ds_bpermute_b32 v13, v8, v3
	v_cvt_f32_f16_e32 v12, v14
	v_mov_b32_e32 v14, s29
	s_waitcnt lgkmcnt(0)
	v_pk_add_f32 v[2:3], v[2:3], v[12:13]
	ds_bpermute_b32 v13, v7, v3
	v_cvt_f32_f16_e32 v12, v15
	s_waitcnt lgkmcnt(0)
	v_pk_add_f32 v[2:3], v[2:3], v[12:13]
	v_div_scale_f32 v12, s[2:3], v3, v3, v2
	v_rcp_f32_e32 v13, v12
	v_div_scale_f32 v10, vcc, v2, v3, v2
	s_cselect_b64 s[2:3], -1, 0
	v_fma_f32 v15, -v12, v13, 1.0
	v_fmac_f32_e32 v13, v15, v13
	v_mul_f32_e32 v15, v10, v13
	v_fma_f32 v16, -v12, v15, v10
	s_add_i32 s4, s8, s33
	v_fmac_f32_e32 v15, v16, v13
	s_mul_i32 s6, s4, s35
	v_fma_f32 v10, -v12, v15, v10
	s_add_i32 s6, s6, s36
	v_div_fmas_f32 v10, v10, v13, v15
	s_mul_i32 s4, s10, s6
	v_div_fixup_f32 v10, v10, v3, v2
	s_add_i32 s4, s4, s9
	v_cndmask_b32_e64 v2, v2, v10, s[2:3]
	v_lshl_or_b32 v10, s4, 7, v210
	v_lshlrev_b64 v[10:11], 2, v[10:11]
	v_add_co_u32_e32 v10, vcc, s28, v10
	s_or_b32 s4, s33, 1
	v_addc_co_u32_e32 v11, vcc, v14, v11, vcc
	s_cmp_ge_i32 s4, s34
	global_store_dword v[10:11], v2, off
	s_barrier
	s_cbranch_scc1 .LBB22_81
; %bb.78:
	v_or_b32_e32 v1, 0x400, v213
	ds_read_b32 v1, v1 offset:128
	s_mov_b32 s4, 0x3fb8aa3b
	s_mov_b32 s5, 0x42b17218
	s_waitcnt lgkmcnt(0)
	ds_bpermute_b32 v2, v4, v1
	v_max_f32_e32 v1, v1, v1
	s_waitcnt lgkmcnt(0)
	v_max_f32_e32 v2, v2, v2
	v_max_f32_e32 v1, v1, v2
	ds_bpermute_b32 v2, v6, v1
	s_waitcnt lgkmcnt(0)
	v_max_f32_e32 v2, v2, v2
	v_max_f32_e32 v1, v1, v2
	ds_bpermute_b32 v2, v5, v1
	;; [unrolled: 4-line block ×4, first 2 shown]
	s_waitcnt lgkmcnt(0)
	v_max_f32_e32 v2, v2, v2
	v_max_f32_e32 v1, v1, v2
	v_sub_f32_e32 v2, v57, v1
	v_mul_f32_e32 v10, 0x3fb8aa3b, v2
	v_fma_f32 v11, v2, s4, -v10
	v_rndne_f32_e32 v12, v10
	v_fmac_f32_e32 v11, 0x32a5705f, v2
	v_sub_f32_e32 v10, v10, v12
	v_add_f32_e32 v10, v10, v11
	v_cvt_i32_f32_e32 v12, v12
	v_exp_f32_e32 v10, v10
	s_mov_b32 s4, 0xc2ce8ed0
	v_cmp_ngt_f32_e32 vcc, s4, v2
	v_mov_b32_e32 v11, 0x7f800000
	v_ldexp_f32 v10, v10, v12
	v_cndmask_b32_e32 v10, 0, v10, vcc
	v_cmp_nlt_f32_e32 vcc, s5, v2
	v_cndmask_b32_e32 v2, v11, v10, vcc
	v_mul_f32_e32 v10, v55, v2
	ds_bpermute_b32 v10, v4, v10
	ds_read_b64 v[12:13], v212 offset:8
	v_cvt_f16_f32_e32 v15, v2
	s_waitcnt lgkmcnt(1)
	v_fmac_f32_e32 v10, v55, v2
	ds_bpermute_b32 v11, v6, v10
	v_mov_b32_e32 v2, v3
	s_waitcnt lgkmcnt(1)
	v_pk_mul_f16 v12, v15, v12 op_sel_hi:[0,1]
	v_pk_mul_f16 v13, v15, v13 op_sel_hi:[0,1]
	ds_write_b64 v212, v[12:13] offset:8
	ds_write_b64 v9, v[12:13]
	s_waitcnt lgkmcnt(2)
	v_add_f32_e32 v10, v10, v11
	ds_bpermute_b32 v11, v5, v10
	s_waitcnt lgkmcnt(0)
	v_add_f32_e32 v11, v10, v11
	ds_bpermute_b32 v14, v8, v11
	v_add_u32_e32 v10, 0x500, v213
	s_waitcnt lgkmcnt(0)
	v_add_f32_e32 v3, v11, v14
	ds_bpermute_b32 v11, v7, v3
	s_and_saveexec_b64 s[4:5], s[0:1]
	s_cbranch_execz .LBB22_80
; %bb.79:
	v_lshlrev_b32_e32 v9, 2, v208
	s_waitcnt lgkmcnt(0)
	v_add_f32_e32 v3, v3, v11
	ds_write_b32 v9, v3 offset:1408
.LBB22_80:
	s_or_b64 exec, exec, s[4:5]
	s_waitcnt lgkmcnt(0)
	s_barrier
	ds_read_b32 v3, v10 offset:128
	ds_read_u16 v9, v211
	ds_read_u16 v14, v211 offset:256
	ds_read_u16 v15, v211 offset:512
	;; [unrolled: 1-line block ×3, first 2 shown]
	s_waitcnt lgkmcnt(4)
	ds_bpermute_b32 v4, v4, v3
	s_waitcnt lgkmcnt(4)
	v_cvt_f32_f16_e32 v10, v9
	v_mov_b32_e32 v9, 0
	v_mov_b32_e32 v12, v9
	s_add_i32 s6, s6, s35
	s_waitcnt lgkmcnt(0)
	v_add_f32_e32 v11, v3, v4
	ds_bpermute_b32 v13, v6, v11
	v_cvt_f32_f16_e32 v4, v14
	v_cvt_f32_f16_e32 v6, v16
	s_mul_i32 s0, s10, s6
	s_add_i32 s0, s0, s9
	s_waitcnt lgkmcnt(0)
	v_pk_add_f32 v[10:11], v[10:11], v[12:13]
	ds_bpermute_b32 v5, v5, v11
	v_mov_b32_e32 v3, s29
	s_waitcnt lgkmcnt(0)
	v_pk_add_f32 v[4:5], v[10:11], v[4:5]
	ds_bpermute_b32 v11, v8, v5
	v_cvt_f32_f16_e32 v10, v15
	v_lshl_or_b32 v8, s0, 7, v210
	v_lshlrev_b64 v[8:9], 2, v[8:9]
	s_waitcnt lgkmcnt(0)
	v_pk_add_f32 v[4:5], v[4:5], v[10:11]
	ds_bpermute_b32 v7, v7, v5
	s_waitcnt lgkmcnt(0)
	v_pk_add_f32 v[54:55], v[4:5], v[6:7]
	v_div_scale_f32 v6, s[0:1], v55, v55, v54
	v_rcp_f32_e32 v7, v6
	v_add_co_u32_e32 v4, vcc, s28, v8
	v_addc_co_u32_e32 v5, vcc, v3, v9, vcc
	v_fma_f32 v8, -v6, v7, 1.0
	v_div_scale_f32 v3, vcc, v54, v55, v54
	v_fmac_f32_e32 v7, v8, v7
	v_mul_f32_e32 v8, v3, v7
	v_fma_f32 v9, -v6, v8, v3
	v_fmac_f32_e32 v8, v9, v7
	v_fma_f32 v3, -v6, v8, v3
	v_div_fmas_f32 v3, v3, v7, v8
	v_div_fixup_f32 v3, v3, v55, v54
	v_cndmask_b32_e64 v3, v54, v3, s[2:3]
	global_store_dword v[4:5], v3, off
	v_mov_b32_e32 v3, v2
	s_branch .LBB22_82
.LBB22_81:
	v_mov_b32_e32 v1, v57
.LBB22_82:
	v_mov_b32_e32 v54, v3
	v_pk_mov_b32 v[56:57], v[0:1], v[0:1] op_sel:[0,1]
.LBB22_83:
	s_waitcnt lgkmcnt(0)
	s_cmp_lg_u32 s10, 1
	s_cselect_b64 s[0:1], -1, 0
	v_cmp_gt_u32_e32 vcc, 2, v210
	v_or_b32_e32 v0, s33, v203
	s_and_b64 s[0:1], vcc, s[0:1]
	v_cmp_gt_i32_e32 vcc, s34, v0
	s_and_b64 s[0:1], s[0:1], vcc
	s_and_saveexec_b64 s[2:3], s[0:1]
	s_cbranch_execz .LBB22_85
; %bb.84:
	v_add_u32_e32 v0, s8, v0
	v_mul_lo_u32 v0, v0, s35
	v_add_u32_e32 v0, s36, v0
	v_mul_lo_u32 v0, s10, v0
	v_add_u32_e32 v0, s9, v0
	v_mov_b32_e32 v1, 0
	v_cmp_eq_u32_e32 vcc, 1, v210
	v_lshlrev_b64 v[0:1], 3, v[0:1]
	v_cndmask_b32_e32 v2, v56, v57, vcc
	v_cndmask_b32_e32 v3, v54, v55, vcc
	v_mov_b32_e32 v4, s31
	v_add_co_u32_e32 v0, vcc, s30, v0
	v_addc_co_u32_e32 v1, vcc, v4, v1, vcc
	global_store_dwordx2 v[0:1], v[2:3], off
.LBB22_85:
	s_endpgm
	.section	.rodata,"a",@progbits
	.p2align	6, 0x0
	.amdhsa_kernel _ZL18flash_attn_ext_vecILi128ELi2EL9ggml_type6ELS0_8ELb1EEvPKcS2_S2_S2_S2_PKiPfP15HIP_vector_typeIfLj2EEffffjfiS6_IjLj3EEiiiiiiiiiiiliiliiiiil
		.amdhsa_group_segment_fixed_size 3584
		.amdhsa_private_segment_fixed_size 0
		.amdhsa_kernarg_size 464
		.amdhsa_user_sgpr_count 8
		.amdhsa_user_sgpr_private_segment_buffer 1
		.amdhsa_user_sgpr_dispatch_ptr 1
		.amdhsa_user_sgpr_queue_ptr 0
		.amdhsa_user_sgpr_kernarg_segment_ptr 1
		.amdhsa_user_sgpr_dispatch_id 0
		.amdhsa_user_sgpr_flat_scratch_init 0
		.amdhsa_user_sgpr_kernarg_preload_length 0
		.amdhsa_user_sgpr_kernarg_preload_offset 0
		.amdhsa_user_sgpr_private_segment_size 0
		.amdhsa_uses_dynamic_stack 0
		.amdhsa_system_sgpr_private_segment_wavefront_offset 0
		.amdhsa_system_sgpr_workgroup_id_x 1
		.amdhsa_system_sgpr_workgroup_id_y 1
		.amdhsa_system_sgpr_workgroup_id_z 1
		.amdhsa_system_sgpr_workgroup_info 0
		.amdhsa_system_vgpr_workitem_id 2
		.amdhsa_next_free_vgpr 248
		.amdhsa_next_free_sgpr 68
		.amdhsa_accum_offset 248
		.amdhsa_reserve_vcc 1
		.amdhsa_reserve_flat_scratch 0
		.amdhsa_float_round_mode_32 0
		.amdhsa_float_round_mode_16_64 0
		.amdhsa_float_denorm_mode_32 3
		.amdhsa_float_denorm_mode_16_64 3
		.amdhsa_dx10_clamp 1
		.amdhsa_ieee_mode 1
		.amdhsa_fp16_overflow 0
		.amdhsa_tg_split 0
		.amdhsa_exception_fp_ieee_invalid_op 0
		.amdhsa_exception_fp_denorm_src 0
		.amdhsa_exception_fp_ieee_div_zero 0
		.amdhsa_exception_fp_ieee_overflow 0
		.amdhsa_exception_fp_ieee_underflow 0
		.amdhsa_exception_fp_ieee_inexact 0
		.amdhsa_exception_int_div_zero 0
	.end_amdhsa_kernel
	.section	.text._ZL18flash_attn_ext_vecILi128ELi2EL9ggml_type6ELS0_8ELb1EEvPKcS2_S2_S2_S2_PKiPfP15HIP_vector_typeIfLj2EEffffjfiS6_IjLj3EEiiiiiiiiiiiliiliiiiil,"axG",@progbits,_ZL18flash_attn_ext_vecILi128ELi2EL9ggml_type6ELS0_8ELb1EEvPKcS2_S2_S2_S2_PKiPfP15HIP_vector_typeIfLj2EEffffjfiS6_IjLj3EEiiiiiiiiiiiliiliiiiil,comdat
.Lfunc_end22:
	.size	_ZL18flash_attn_ext_vecILi128ELi2EL9ggml_type6ELS0_8ELb1EEvPKcS2_S2_S2_S2_PKiPfP15HIP_vector_typeIfLj2EEffffjfiS6_IjLj3EEiiiiiiiiiiiliiliiiiil, .Lfunc_end22-_ZL18flash_attn_ext_vecILi128ELi2EL9ggml_type6ELS0_8ELb1EEvPKcS2_S2_S2_S2_PKiPfP15HIP_vector_typeIfLj2EEffffjfiS6_IjLj3EEiiiiiiiiiiiliiliiiiil
                                        ; -- End function
	.section	.AMDGPU.csdata,"",@progbits
; Kernel info:
; codeLenInByte = 20528
; NumSgprs: 72
; NumVgprs: 248
; NumAgprs: 0
; TotalNumVgprs: 248
; ScratchSize: 0
; MemoryBound: 0
; FloatMode: 240
; IeeeMode: 1
; LDSByteSize: 3584 bytes/workgroup (compile time only)
; SGPRBlocks: 8
; VGPRBlocks: 30
; NumSGPRsForWavesPerEU: 72
; NumVGPRsForWavesPerEU: 248
; AccumOffset: 248
; Occupancy: 2
; WaveLimiterHint : 0
; COMPUTE_PGM_RSRC2:SCRATCH_EN: 0
; COMPUTE_PGM_RSRC2:USER_SGPR: 8
; COMPUTE_PGM_RSRC2:TRAP_HANDLER: 0
; COMPUTE_PGM_RSRC2:TGID_X_EN: 1
; COMPUTE_PGM_RSRC2:TGID_Y_EN: 1
; COMPUTE_PGM_RSRC2:TGID_Z_EN: 1
; COMPUTE_PGM_RSRC2:TIDIG_COMP_CNT: 2
; COMPUTE_PGM_RSRC3_GFX90A:ACCUM_OFFSET: 61
; COMPUTE_PGM_RSRC3_GFX90A:TG_SPLIT: 0
	.section	.text._ZL18flash_attn_ext_vecILi256ELi1EL9ggml_type6ELS0_8ELb0EEvPKcS2_S2_S2_S2_PKiPfP15HIP_vector_typeIfLj2EEffffjfiS6_IjLj3EEiiiiiiiiiiiliiliiiiil,"axG",@progbits,_ZL18flash_attn_ext_vecILi256ELi1EL9ggml_type6ELS0_8ELb0EEvPKcS2_S2_S2_S2_PKiPfP15HIP_vector_typeIfLj2EEffffjfiS6_IjLj3EEiiiiiiiiiiiliiliiiiil,comdat
	.globl	_ZL18flash_attn_ext_vecILi256ELi1EL9ggml_type6ELS0_8ELb0EEvPKcS2_S2_S2_S2_PKiPfP15HIP_vector_typeIfLj2EEffffjfiS6_IjLj3EEiiiiiiiiiiiliiliiiiil ; -- Begin function _ZL18flash_attn_ext_vecILi256ELi1EL9ggml_type6ELS0_8ELb0EEvPKcS2_S2_S2_S2_PKiPfP15HIP_vector_typeIfLj2EEffffjfiS6_IjLj3EEiiiiiiiiiiiliiliiiiil
	.p2align	8
	.type	_ZL18flash_attn_ext_vecILi256ELi1EL9ggml_type6ELS0_8ELb0EEvPKcS2_S2_S2_S2_PKiPfP15HIP_vector_typeIfLj2EEffffjfiS6_IjLj3EEiiiiiiiiiiiliiliiiiil,@function
_ZL18flash_attn_ext_vecILi256ELi1EL9ggml_type6ELS0_8ELb0EEvPKcS2_S2_S2_S2_PKiPfP15HIP_vector_typeIfLj2EEffffjfiS6_IjLj3EEiiiiiiiiiiiliiliiiiil: ; @_ZL18flash_attn_ext_vecILi256ELi1EL9ggml_type6ELS0_8ELb0EEvPKcS2_S2_S2_S2_PKiPfP15HIP_vector_typeIfLj2EEffffjfiS6_IjLj3EEiiiiiiiiiiiliiliiiiil
; %bb.0:
	s_load_dwordx2 s[28:29], s[4:5], 0x64
	s_load_dwordx2 s[34:35], s[4:5], 0x80
	s_load_dwordx2 s[38:39], s[4:5], 0xb8
	s_load_dwordx4 s[24:27], s[4:5], 0x40
	v_mov_b32_e32 v103, 1.0
	s_waitcnt lgkmcnt(0)
	v_cvt_f32_u32_e32 v1, s29
	s_sub_i32 s0, 0, s29
	v_rcp_iflag_f32_e32 v1, v1
	v_mul_f32_e32 v1, 0x4f7ffffe, v1
	v_cvt_u32_f32_e32 v1, v1
	v_readfirstlane_b32 s1, v1
	s_mul_i32 s0, s0, s1
	s_mul_hi_u32 s0, s1, s0
	s_add_i32 s1, s1, s0
	s_mul_hi_u32 s0, s8, s1
	s_mul_i32 s1, s0, s29
	s_sub_i32 s1, s8, s1
	s_add_i32 s2, s0, 1
	s_sub_i32 s3, s1, s29
	s_cmp_ge_u32 s1, s29
	s_cselect_b32 s0, s2, s0
	s_cselect_b32 s1, s3, s1
	s_add_i32 s2, s0, 1
	s_cmp_ge_u32 s1, s29
	s_cselect_b32 s33, s2, s0
	s_load_dword s0, s[4:5], 0x50
	s_abs_i32 s1, s35
	v_cvt_f32_u32_e32 v1, s1
	s_mul_i32 s9, s33, s29
	s_sub_i32 s10, 0, s1
	s_sub_i32 s30, s8, s9
	v_rcp_iflag_f32_e32 v1, v1
	s_abs_i32 s3, s29
	s_xor_b32 s2, s29, s35
	s_ashr_i32 s2, s2, 31
	v_mul_f32_e32 v1, 0x4f7ffffe, v1
	v_cvt_u32_f32_e32 v1, v1
	s_mov_b32 s36, s24
	s_mov_b32 s37, s25
	v_readfirstlane_b32 s8, v1
	s_mul_i32 s10, s10, s8
	s_mul_hi_u32 s9, s8, s10
	s_add_i32 s8, s8, s9
	s_mul_hi_u32 s8, s3, s8
	s_mul_i32 s9, s8, s1
	s_sub_i32 s3, s3, s9
	s_add_i32 s10, s8, 1
	s_sub_i32 s9, s3, s1
	s_cmp_ge_u32 s3, s1
	s_cselect_b32 s8, s10, s8
	s_cselect_b32 s3, s9, s3
	s_add_i32 s9, s8, 1
	s_cmp_ge_u32 s3, s1
	s_cselect_b32 s1, s9, s8
	s_xor_b32 s1, s1, s2
	s_sub_i32 s40, s1, s2
	s_abs_i32 s42, s40
	v_cvt_f32_u32_e32 v1, s42
	s_abs_i32 s35, s38
	v_cvt_f32_u32_e32 v2, s35
	s_sub_i32 s2, 0, s42
	v_rcp_iflag_f32_e32 v1, v1
	s_sub_i32 s1, 0, s35
	v_rcp_iflag_f32_e32 v2, v2
	s_abs_i32 s43, s30
	v_mul_f32_e32 v1, 0x4f7ffffe, v1
	v_cvt_u32_f32_e32 v1, v1
	v_mul_f32_e32 v2, 0x4f7ffffe, v2
	v_cvt_u32_f32_e32 v2, v2
	s_abs_i32 s38, s33
	v_readfirstlane_b32 s10, v1
	s_mul_i32 s2, s2, s10
	v_readfirstlane_b32 s11, v2
	s_mul_hi_u32 s2, s10, s2
	s_mul_i32 s1, s1, s11
	s_add_i32 s10, s10, s2
	s_mul_hi_u32 s1, s11, s1
	v_cmp_le_f32_e64 s[2:3], s25, 0
	s_add_i32 s11, s11, s1
	s_and_b64 vcc, exec, s[2:3]
	s_cbranch_vccnz .LBB23_2
; %bb.1:
	s_waitcnt lgkmcnt(0)
	s_sub_i32 s1, s30, s0
	s_lshl_b32 s1, s1, 1
	s_add_i32 s2, s30, 1
	s_or_b32 s3, s1, 1
	s_cmp_lt_u32 s30, s0
	s_cselect_b64 vcc, -1, 0
	s_and_b64 s[0:1], vcc, exec
	v_mov_b32_e32 v1, s27
	v_mov_b32_e32 v2, s26
	s_cselect_b32 s0, s2, s3
	v_cndmask_b32_e32 v18, v1, v2, vcc
	v_cvt_f32_i32_e32 v1, s0
	v_cmp_neq_f32_e32 vcc, 1.0, v18
	s_mov_b32 s0, 0x3f2aaaab
	s_movk_i32 s2, 0x204
	v_cndmask_b32_e32 v19, 1.0, v1, vcc
	v_cmp_eq_f32_e32 vcc, 0, v19
	v_cndmask_b32_e64 v20, |v18|, 1.0, vcc
	v_frexp_mant_f32_e32 v1, v20
	v_cmp_gt_f32_e64 s[0:1], s0, v1
	v_cndmask_b32_e64 v2, 1.0, 2.0, s[0:1]
	v_mul_f32_e32 v1, v1, v2
	v_add_f32_e32 v2, 1.0, v1
	v_rcp_f32_e32 v10, v2
	v_add_f32_e32 v3, -1.0, v2
	v_sub_f32_e32 v5, v1, v3
	v_add_f32_e32 v3, -1.0, v1
	v_mul_f32_e32 v1, v3, v10
	v_mul_f32_e32 v4, v2, v1
	v_fma_f32 v6, v1, v2, -v4
	v_fmac_f32_e32 v6, v1, v5
	v_add_f32_e32 v2, v4, v6
	v_sub_f32_e32 v5, v3, v2
	v_pk_add_f32 v[8:9], v[2:3], v[4:5] neg_lo:[0,1] neg_hi:[0,1]
	v_mov_b32_e32 v7, v2
	v_pk_add_f32 v[2:3], v[8:9], v[6:7] neg_lo:[0,1] neg_hi:[0,1]
	v_add_f32_e32 v2, v2, v3
	v_add_f32_e32 v2, v5, v2
	v_mul_f32_e32 v3, v10, v2
	v_add_f32_e32 v2, v1, v3
	v_sub_f32_e32 v1, v2, v1
	v_sub_f32_e32 v1, v3, v1
	v_mul_f32_e32 v3, v2, v2
	v_fma_f32 v5, v2, v2, -v3
	v_add_f32_e32 v4, v1, v1
	v_fmac_f32_e32 v5, v2, v4
	v_add_f32_e32 v4, v3, v5
	v_mov_b32_e32 v6, 0x3e91f4c4
	v_fmac_f32_e32 v6, 0x3e76c4e1, v4
	v_mov_b32_e32 v7, 0x3ecccdef
	v_fmac_f32_e32 v7, v4, v6
	v_sub_f32_e32 v3, v4, v3
	v_sub_f32_e32 v12, v5, v3
	v_mul_f32_e32 v3, v4, v7
	v_fma_f32 v5, v4, v7, -v3
	v_fmac_f32_e32 v5, v12, v7
	v_add_f32_e32 v6, v3, v5
	v_add_f32_e32 v7, 0x3f2aaaaa, v6
	v_sub_f32_e32 v3, v6, v3
	v_sub_f32_e32 v3, v5, v3
	v_add_f32_e32 v5, 0xbf2aaaaa, v7
	v_add_f32_e32 v3, 0x31739010, v3
	v_sub_f32_e32 v5, v6, v5
	v_pk_mul_f32 v[8:9], v[2:3], v[4:5]
	v_fma_f32 v6, v4, v2, -v8
	v_pk_add_f32 v[10:11], v[2:3], v[4:5]
	v_fmac_f32_e32 v6, v4, v1
	v_mov_b32_e32 v9, v11
	v_fmac_f32_e32 v6, v12, v2
	v_pk_add_f32 v[4:5], v[8:9], v[6:7]
	v_sub_f32_e32 v3, v4, v8
	v_sub_f32_e32 v3, v6, v3
	;; [unrolled: 1-line block ×3, first 2 shown]
	v_add_f32_e32 v9, v11, v6
	v_mov_b32_e32 v6, v5
	v_pk_mul_f32 v[6:7], v[4:5], v[6:7]
	v_cvt_f64_f32_e32 v[10:11], v20
	v_frexp_exp_i32_f64_e32 v7, v[10:11]
	v_subbrev_co_u32_e64 v7, s[0:1], 0, v7, s[0:1]
	v_cvt_f32_i32_e32 v7, v7
	v_fma_f32 v8, v4, v5, -v6
	v_fmac_f32_e32 v8, v4, v9
	s_mov_b32 s0, 0x3f317218
	v_mul_f32_e32 v4, 0x3f317218, v7
	v_fmac_f32_e32 v8, v3, v5
	v_fma_f32 v10, v7, s0, -v4
	v_fmac_f32_e32 v10, 0xb102e308, v7
	v_ldexp_f32 v11, v2, 1
	v_add_f32_e32 v5, v6, v8
	v_pk_add_f32 v[2:3], v[4:5], v[10:11]
	v_mov_b32_e32 v12, v5
	v_mov_b32_e32 v13, v3
	;; [unrolled: 1-line block ×3, first 2 shown]
	v_pk_add_f32 v[6:7], v[12:13], v[6:7] neg_lo:[0,1] neg_hi:[0,1]
	v_mov_b32_e32 v9, v5
	v_ldexp_f32 v1, v1, 1
	v_pk_add_f32 v[6:7], v[8:9], v[6:7] neg_lo:[0,1] neg_hi:[0,1]
	v_add_f32_e32 v1, v1, v6
	v_add_f32_e32 v5, v1, v7
	v_pk_add_f32 v[6:7], v[2:3], v[4:5] neg_lo:[0,1] neg_hi:[0,1]
	v_pk_add_f32 v[8:9], v[2:3], v[4:5]
	v_mov_b32_e32 v12, v6
	v_mov_b32_e32 v13, v9
	;; [unrolled: 1-line block ×3, first 2 shown]
	v_pk_add_f32 v[12:13], v[10:11], v[12:13]
	v_mov_b32_e32 v4, v13
	v_pk_add_f32 v[14:15], v[4:5], v[2:3] neg_lo:[0,1] neg_hi:[0,1]
	v_mov_b32_e32 v1, v14
	v_mov_b32_e32 v12, v9
	;; [unrolled: 1-line block ×4, first 2 shown]
	v_pk_add_f32 v[6:7], v[10:11], v[6:7] neg_lo:[0,1] neg_hi:[0,1]
	v_pk_add_f32 v[16:17], v[8:9], v[0:1] neg_lo:[0,1] neg_hi:[0,1]
	;; [unrolled: 1-line block ×3, first 2 shown]
	v_mov_b32_e32 v10, v5
	v_pk_add_f32 v[2:3], v[10:11], v[2:3] neg_lo:[0,1] neg_hi:[0,1]
	v_mov_b32_e32 v16, v6
	v_pk_add_f32 v[8:9], v[16:17], v[2:3]
	v_mov_b32_e32 v10, v9
	v_pk_add_f32 v[10:11], v[8:9], v[10:11]
	v_pk_add_f32 v[4:5], v[4:5], v[10:11]
	v_mov_b32_e32 v7, v13
	v_mov_b32_e32 v9, v4
	v_pk_add_f32 v[12:13], v[8:9], v[6:7] neg_lo:[0,1] neg_hi:[0,1]
	v_mov_b32_e32 v3, v10
	v_sub_f32_e32 v1, v8, v12
	v_pk_add_f32 v[2:3], v[2:3], v[12:13] neg_lo:[0,1] neg_hi:[0,1]
	v_sub_f32_e32 v1, v6, v1
	v_add_f32_e32 v1, v2, v1
	v_add_f32_e32 v1, v1, v3
	;; [unrolled: 1-line block ×3, first 2 shown]
	v_sub_f32_e32 v3, v2, v4
	v_sub_f32_e32 v1, v1, v3
	v_mul_f32_e32 v3, v19, v2
	v_fma_f32 v2, v19, v2, -v3
	v_fmac_f32_e32 v2, v19, v1
	v_add_f32_e32 v1, v3, v2
	v_cmp_class_f32_e64 s[0:1], v3, s2
	v_sub_f32_e32 v4, v1, v3
	v_cndmask_b32_e64 v1, v1, v3, s[0:1]
	s_mov_b32 s8, 0x42b17218
	v_mov_b32_e32 v3, 0x37000000
	v_cmp_eq_f32_e64 s[0:1], s8, v1
	v_cndmask_b32_e64 v3, 0, v3, s[0:1]
	v_sub_f32_e32 v2, v2, v4
	v_sub_f32_e32 v4, v1, v3
	s_mov_b32 s0, 0x3fb8aa3b
	v_mul_f32_e32 v5, 0x3fb8aa3b, v4
	v_fma_f32 v6, v4, s0, -v5
	v_rndne_f32_e32 v7, v5
	v_fmac_f32_e32 v6, 0x32a5705f, v4
	v_sub_f32_e32 v5, v5, v7
	v_add_f32_e32 v5, v5, v6
	v_exp_f32_e32 v5, v5
	v_cvt_i32_f32_e32 v6, v7
	s_mov_b32 s3, 0x7f800000
	v_cmp_neq_f32_e64 s[0:1], |v1|, s3
	v_cndmask_b32_e64 v1, 0, v2, s[0:1]
	s_mov_b32 s0, 0xc2ce8ed0
	v_ldexp_f32 v2, v5, v6
	v_cmp_ngt_f32_e64 s[0:1], s0, v4
	v_add_f32_e32 v1, v3, v1
	v_cndmask_b32_e64 v2, 0, v2, s[0:1]
	v_mov_b32_e32 v3, 0x7f800000
	v_cmp_nlt_f32_e64 s[0:1], s8, v4
	v_cndmask_b32_e64 v2, v3, v2, s[0:1]
	v_fma_f32 v1, v2, v1, v2
	v_cmp_class_f32_e64 s[0:1], v2, s2
	v_trunc_f32_e32 v4, v19
	v_cndmask_b32_e64 v1, v1, v2, s[0:1]
	v_cndmask_b32_e64 v2, v18, 1.0, vcc
	v_cmp_eq_f32_e32 vcc, v4, v19
	v_mul_f32_e32 v4, 0.5, v19
	v_trunc_f32_e32 v6, v4
	v_cmp_neq_f32_e64 s[0:1], v6, v4
	s_and_b64 s[0:1], vcc, s[0:1]
	v_cndmask_b32_e64 v4, 1.0, v2, s[0:1]
	s_brev_b32 s12, -2
	v_mov_b32_e32 v5, 0x7fc00000
	v_bfi_b32 v1, s12, v1, v4
	v_cndmask_b32_e32 v4, v5, v1, vcc
	v_cmp_gt_f32_e32 vcc, 0, v2
	v_cndmask_b32_e32 v1, v1, v4, vcc
	v_cmp_eq_f32_e32 vcc, s3, v20
	v_cmp_eq_f32_e64 s[2:3], 0, v2
	v_cmp_gt_f32_e64 s[8:9], 0, v19
	s_xor_b64 s[8:9], s[8:9], s[2:3]
	v_cndmask_b32_e64 v3, v3, 0, s[8:9]
	v_cndmask_b32_e64 v4, 0, v2, s[0:1]
	v_bfi_b32 v3, s12, v3, v4
	s_or_b64 vcc, vcc, s[2:3]
	v_cndmask_b32_e32 v1, v1, v3, vcc
	v_cmp_o_f32_e32 vcc, v2, v2
	v_cndmask_b32_e32 v103, v5, v1, vcc
.LBB23_2:
	s_mul_hi_u32 s45, s43, s10
	s_mul_hi_u32 s44, s38, s11
	s_load_dwordx16 s[8:23], s[4:5], 0x0
	v_bfe_u32 v97, v0, 10, 10
	v_and_b32_e32 v99, 0x3ff, v0
	s_waitcnt lgkmcnt(0)
	v_cmp_eq_u32_e64 s[0:1], 0, v97
	v_mbcnt_lo_u32_b32 v101, -1, 0
	s_and_saveexec_b64 s[26:27], s[0:1]
	s_cbranch_execz .LBB23_11
; %bb.3:
	s_load_dwordx4 s[48:51], s[4:5], 0x70
	v_lshlrev_b32_e32 v9, 4, v99
	v_mbcnt_hi_u32_b32 v4, -1, v101
	v_and_b32_e32 v5, 0x60, v4
	v_xor_b32_e32 v6, 4, v4
	s_waitcnt lgkmcnt(0)
	s_mul_i32 s2, s33, s50
	s_mul_i32 s25, s6, s48
	;; [unrolled: 1-line block ×3, first 2 shown]
	s_add_i32 s2, s2, s25
	s_add_i32 s2, s2, s3
	s_ashr_i32 s3, s2, 31
	s_add_u32 s2, s8, s2
	s_addc_u32 s3, s9, s3
	global_load_dwordx4 v[0:3], v9, s[2:3]
	v_add_u32_e32 v5, 32, v5
	v_xor_b32_e32 v7, 2, v4
	v_cmp_lt_i32_e32 vcc, v6, v5
	v_xor_b32_e32 v8, 1, v4
	v_cndmask_b32_e32 v6, v4, v6, vcc
	v_cmp_lt_i32_e32 vcc, v7, v5
	v_cndmask_b32_e32 v7, v4, v7, vcc
	v_cmp_lt_i32_e32 vcc, v8, v5
	v_cndmask_b32_e32 v13, v4, v8, vcc
	v_lshlrev_b32_e32 v8, 2, v6
	v_lshlrev_b32_e32 v6, 2, v7
	;; [unrolled: 1-line block ×3, first 2 shown]
	s_mov_b32 s8, 0x42fe0000
	v_mov_b32_e32 v13, s3
	v_mov_b32_e32 v11, 0
	s_mov_b32 s25, s24
	s_waitcnt vmcnt(0)
	v_mul_f32_e32 v12, s24, v0
	v_mov_b32_e32 v0, v3
	v_pk_mul_f32 v[4:5], v[0:1], s[36:37] op_sel_hi:[1,0]
	v_max_f32_e64 v0, |v12|, |v12|
	v_mul_f32_e32 v10, s24, v2
	v_max_f32_e64 v0, v0, |v5|
	v_max3_f32 v0, v0, |v10|, |v4|
	ds_bpermute_b32 v1, v8, v0
	v_add_f32_e32 v3, v5, v12
	v_fmac_f32_e32 v3, s24, v2
	v_add_f32_e32 v2, v4, v3
	ds_bpermute_b32 v3, v8, v2
	s_waitcnt lgkmcnt(1)
	v_max_f32_e32 v1, v1, v1
	v_max_f32_e32 v0, v0, v1
	ds_bpermute_b32 v1, v6, v0
	s_waitcnt lgkmcnt(1)
	v_add_f32_e32 v2, v2, v3
	ds_bpermute_b32 v3, v6, v2
	s_waitcnt lgkmcnt(1)
	v_max_f32_e32 v1, v1, v1
	v_max_f32_e32 v14, v0, v1
	ds_bpermute_b32 v15, v7, v14
	s_waitcnt lgkmcnt(1)
	v_add_f32_e32 v3, v2, v3
	v_add_co_u32_e32 v0, vcc, s2, v9
	v_addc_co_u32_e32 v1, vcc, 0, v13, vcc
	s_waitcnt lgkmcnt(0)
	v_max_f32_e32 v2, v15, v15
	v_max_f32_e32 v2, v14, v2
	v_div_scale_f32 v13, s[2:3], s8, s8, v2
	v_rcp_f32_e32 v14, v13
	v_div_scale_f32 v15, vcc, v2, s8, v2
	ds_bpermute_b32 v9, v7, v3
	v_fma_f32 v16, -v13, v14, 1.0
	v_fmac_f32_e32 v14, v16, v14
	v_mul_f32_e32 v16, v15, v14
	v_fma_f32 v17, -v13, v16, v15
	v_fmac_f32_e32 v16, v17, v14
	v_fma_f32 v13, -v13, v16, v15
	v_div_fmas_f32 v13, v13, v14, v16
	v_div_fixup_f32 v2, v13, s8, v2
	v_cmp_neq_f32_e32 vcc, 0, v2
	s_and_saveexec_b64 s[2:3], vcc
	s_cbranch_execz .LBB23_5
; %bb.4:
	v_div_scale_f32 v11, s[8:9], v2, v2, v12
	v_rcp_f32_e32 v13, v11
	v_div_scale_f32 v14, vcc, v12, v2, v12
	s_brev_b32 s31, -2
	v_fma_f32 v15, -v11, v13, 1.0
	v_fmac_f32_e32 v13, v15, v13
	v_mul_f32_e32 v15, v14, v13
	v_fma_f32 v16, -v11, v15, v14
	v_fmac_f32_e32 v15, v16, v13
	v_fma_f32 v11, -v11, v15, v14
	v_div_fmas_f32 v11, v11, v13, v15
	v_div_fixup_f32 v11, v11, v2, v12
	v_trunc_f32_e32 v12, v11
	v_sub_f32_e32 v13, v11, v12
	v_cmp_ge_f32_e64 s[8:9], |v13|, 0.5
	v_cndmask_b32_e64 v13, 0, 1.0, s[8:9]
	v_div_scale_f32 v14, s[8:9], v2, v2, v4
	v_rcp_f32_e32 v15, v14
	v_bfi_b32 v11, s31, v13, v11
	v_add_f32_e32 v11, v12, v11
	v_cvt_i32_f32_e32 v11, v11
	v_fma_f32 v12, -v14, v15, 1.0
	v_fmac_f32_e32 v15, v12, v15
	v_div_scale_f32 v12, vcc, v4, v2, v4
	v_mul_f32_e32 v13, v12, v15
	v_fma_f32 v16, -v14, v13, v12
	v_fmac_f32_e32 v13, v16, v15
	v_div_scale_f32 v16, s[8:9], v2, v2, v5
	v_rcp_f32_e32 v17, v16
	v_fma_f32 v12, -v14, v13, v12
	v_div_fmas_f32 v12, v12, v15, v13
	v_div_fixup_f32 v4, v12, v2, v4
	v_fma_f32 v13, -v16, v17, 1.0
	v_fmac_f32_e32 v17, v13, v17
	v_div_scale_f32 v13, vcc, v5, v2, v5
	v_mul_f32_e32 v14, v13, v17
	v_fma_f32 v15, -v16, v14, v13
	v_fmac_f32_e32 v14, v15, v17
	v_div_scale_f32 v15, s[8:9], v2, v2, v10
	v_rcp_f32_e32 v18, v15
	v_fma_f32 v13, -v16, v14, v13
	v_div_fmas_f32 v13, v13, v17, v14
	v_div_fixup_f32 v5, v13, v2, v5
	v_fma_f32 v14, -v15, v18, 1.0
	v_fmac_f32_e32 v18, v14, v18
	v_div_scale_f32 v14, vcc, v10, v2, v10
	v_mul_f32_e32 v16, v14, v18
	v_fma_f32 v17, -v15, v16, v14
	v_fmac_f32_e32 v16, v17, v18
	v_fma_f32 v14, -v15, v16, v14
	v_div_fmas_f32 v14, v14, v18, v16
	v_div_fixup_f32 v10, v14, v2, v10
	v_trunc_f32_e32 v14, v10
	v_sub_f32_e32 v15, v10, v14
	v_trunc_f32_e32 v12, v5
	v_cmp_ge_f32_e64 s[8:9], |v15|, 0.5
	v_sub_f32_e32 v13, v5, v12
	v_cndmask_b32_e64 v15, 0, 1.0, s[8:9]
	v_cmp_ge_f32_e64 s[8:9], |v13|, 0.5
	v_cndmask_b32_e64 v13, 0, 1.0, s[8:9]
	v_bfi_b32 v5, s31, v13, v5
	v_add_f32_e32 v5, v12, v5
	v_trunc_f32_e32 v12, v4
	v_sub_f32_e32 v13, v4, v12
	v_bfi_b32 v10, s31, v15, v10
	v_cmp_ge_f32_e64 s[8:9], |v13|, 0.5
	v_add_f32_e32 v10, v14, v10
	v_cndmask_b32_e64 v13, 0, 1.0, s[8:9]
	v_cvt_i32_f32_e32 v10, v10
	v_bfi_b32 v4, s31, v13, v4
	v_add_f32_e32 v4, v12, v4
	v_cvt_i32_f32_e32 v5, v5
	v_cvt_i32_f32_e32 v4, v4
	v_and_b32_e32 v10, 0xff, v10
	v_lshlrev_b32_e32 v10, 16, v10
	v_mov_b32_e32 v12, 8
	v_lshlrev_b32_sdwa v5, v12, v5 dst_sel:DWORD dst_unused:UNUSED_PAD src0_sel:DWORD src1_sel:BYTE_0
	v_lshl_or_b32 v4, v4, 24, v10
	v_and_b32_e32 v10, 0xff, v11
	v_or3_b32 v11, v4, v5, v10
.LBB23_5:
	s_or_b64 exec, exec, s[2:3]
	v_and_b32_e32 v5, 7, v99
	v_lshlrev_b32_e32 v4, 2, v99
	v_cmp_eq_u32_e64 s[2:3], 0, v5
	ds_write_b32 v4, v11
	s_and_saveexec_b64 s[8:9], s[2:3]
	s_cbranch_execz .LBB23_7
; %bb.6:
	s_waitcnt lgkmcnt(1)
	v_add_f32_e32 v3, v3, v9
	ds_write_b64 v99, v[2:3] offset:256
.LBB23_7:
	s_or_b64 exec, exec, s[8:9]
	global_load_dwordx4 v[0:3], v[0:1], off offset:512
	s_waitcnt vmcnt(0)
	v_mul_f32_e32 v10, s24, v0
	v_mov_b32_e32 v0, v3
	v_pk_mul_f32 v[0:1], v[0:1], s[24:25]
	v_max_f32_e64 v3, |v10|, |v10|
	s_waitcnt lgkmcnt(1)
	v_mul_f32_e32 v9, s24, v2
	v_max_f32_e64 v3, v3, |v1|
	v_max3_f32 v3, v3, |v9|, |v0|
	ds_bpermute_b32 v5, v8, v3
	v_add_f32_e32 v11, v1, v10
	v_fmac_f32_e32 v11, s24, v2
	v_add_f32_e32 v2, v0, v11
	ds_bpermute_b32 v8, v8, v2
	s_waitcnt lgkmcnt(1)
	v_max_f32_e32 v5, v5, v5
	v_max_f32_e32 v3, v3, v5
	ds_bpermute_b32 v5, v6, v3
	s_mov_b32 s24, 0x42fe0000
	s_waitcnt lgkmcnt(1)
	v_add_f32_e32 v2, v2, v8
	ds_bpermute_b32 v6, v6, v2
	s_waitcnt lgkmcnt(1)
	v_max_f32_e32 v5, v5, v5
	v_max_f32_e32 v5, v3, v5
	ds_bpermute_b32 v8, v7, v5
	s_waitcnt lgkmcnt(1)
	v_add_f32_e32 v3, v2, v6
	s_waitcnt lgkmcnt(0)
	v_max_f32_e32 v2, v8, v8
	v_max_f32_e32 v2, v5, v2
	v_div_scale_f32 v6, s[8:9], s24, s24, v2
	v_rcp_f32_e32 v8, v6
	ds_bpermute_b32 v5, v7, v3
	v_div_scale_f32 v7, vcc, v2, s24, v2
	v_fma_f32 v11, -v6, v8, 1.0
	v_fmac_f32_e32 v8, v11, v8
	v_mul_f32_e32 v11, v7, v8
	v_fma_f32 v12, -v6, v11, v7
	v_fmac_f32_e32 v11, v12, v8
	v_fma_f32 v6, -v6, v11, v7
	v_div_fmas_f32 v6, v6, v8, v11
	v_div_fixup_f32 v2, v6, s24, v2
	v_cmp_neq_f32_e32 vcc, 0, v2
	v_mov_b32_e32 v6, 0
	s_and_saveexec_b64 s[8:9], vcc
	s_cbranch_execz .LBB23_9
; %bb.8:
	v_div_scale_f32 v6, s[24:25], v2, v2, v10
	v_rcp_f32_e32 v7, v6
	v_div_scale_f32 v8, vcc, v10, v2, v10
	s_brev_b32 s31, -2
	v_fma_f32 v11, -v6, v7, 1.0
	v_fmac_f32_e32 v7, v11, v7
	v_mul_f32_e32 v11, v8, v7
	v_fma_f32 v12, -v6, v11, v8
	v_fmac_f32_e32 v11, v12, v7
	v_fma_f32 v6, -v6, v11, v8
	v_div_fmas_f32 v6, v6, v7, v11
	v_div_fixup_f32 v6, v6, v2, v10
	v_trunc_f32_e32 v7, v6
	v_sub_f32_e32 v8, v6, v7
	v_cmp_ge_f32_e64 s[24:25], |v8|, 0.5
	v_cndmask_b32_e64 v8, 0, 1.0, s[24:25]
	v_div_scale_f32 v10, s[24:25], v2, v2, v0
	v_rcp_f32_e32 v11, v10
	v_bfi_b32 v6, s31, v8, v6
	v_add_f32_e32 v6, v7, v6
	v_cvt_i32_f32_e32 v6, v6
	v_fma_f32 v7, -v10, v11, 1.0
	v_fmac_f32_e32 v11, v7, v11
	v_div_scale_f32 v7, vcc, v0, v2, v0
	v_mul_f32_e32 v8, v7, v11
	v_fma_f32 v12, -v10, v8, v7
	v_fmac_f32_e32 v8, v12, v11
	v_div_scale_f32 v12, s[24:25], v2, v2, v1
	v_rcp_f32_e32 v13, v12
	v_fma_f32 v7, -v10, v8, v7
	v_div_fmas_f32 v7, v7, v11, v8
	v_div_fixup_f32 v0, v7, v2, v0
	v_fma_f32 v8, -v12, v13, 1.0
	v_fmac_f32_e32 v13, v8, v13
	v_div_scale_f32 v8, vcc, v1, v2, v1
	v_mul_f32_e32 v10, v8, v13
	v_fma_f32 v11, -v12, v10, v8
	v_fmac_f32_e32 v10, v11, v13
	v_div_scale_f32 v11, s[24:25], v2, v2, v9
	v_rcp_f32_e32 v14, v11
	v_fma_f32 v8, -v12, v10, v8
	v_div_fmas_f32 v8, v8, v13, v10
	v_div_fixup_f32 v1, v8, v2, v1
	v_fma_f32 v10, -v11, v14, 1.0
	v_fmac_f32_e32 v14, v10, v14
	v_div_scale_f32 v10, vcc, v9, v2, v9
	v_mul_f32_e32 v12, v10, v14
	v_fma_f32 v13, -v11, v12, v10
	v_fmac_f32_e32 v12, v13, v14
	v_fma_f32 v10, -v11, v12, v10
	v_div_fmas_f32 v10, v10, v14, v12
	v_div_fixup_f32 v9, v10, v2, v9
	v_trunc_f32_e32 v10, v9
	v_sub_f32_e32 v11, v9, v10
	v_cmp_ge_f32_e64 s[24:25], |v11|, 0.5
	v_cndmask_b32_e64 v11, 0, 1.0, s[24:25]
	v_bfi_b32 v9, s31, v11, v9
	v_add_f32_e32 v9, v10, v9
	v_cvt_i32_f32_e32 v9, v9
	v_trunc_f32_e32 v8, v1
	v_and_b32_e32 v6, 0xff, v6
	v_and_b32_e32 v7, 0xff, v9
	v_sub_f32_e32 v9, v1, v8
	v_cmp_ge_f32_e64 s[24:25], |v9|, 0.5
	v_cndmask_b32_e64 v9, 0, 1.0, s[24:25]
	v_bfi_b32 v1, s31, v9, v1
	v_add_f32_e32 v1, v8, v1
	v_trunc_f32_e32 v8, v0
	v_sub_f32_e32 v9, v0, v8
	v_cmp_ge_f32_e64 s[24:25], |v9|, 0.5
	v_cndmask_b32_e64 v9, 0, 1.0, s[24:25]
	v_bfi_b32 v0, s31, v9, v0
	v_add_f32_e32 v0, v8, v0
	v_cvt_i32_f32_e32 v1, v1
	v_cvt_i32_f32_e32 v0, v0
	v_lshlrev_b32_e32 v7, 16, v7
	v_mov_b32_e32 v8, 8
	v_lshlrev_b32_sdwa v1, v8, v1 dst_sel:DWORD dst_unused:UNUSED_PAD src0_sel:DWORD src1_sel:BYTE_0
	v_lshl_or_b32 v0, v0, 24, v7
	v_or3_b32 v6, v0, v1, v6
.LBB23_9:
	s_or_b64 exec, exec, s[8:9]
	ds_write_b32 v4, v6 offset:128
	s_and_b64 exec, exec, s[2:3]
	s_cbranch_execz .LBB23_11
; %bb.10:
	s_waitcnt lgkmcnt(1)
	v_add_f32_e32 v3, v3, v5
	ds_write_b64 v99, v[2:3] offset:288
.LBB23_11:
	s_or_b64 exec, exec, s[26:27]
	v_and_b32_e32 v16, 3, v99
	v_lshlrev_b32_e32 v24, 2, v16
	v_mov_b32_e32 v111, 0
	s_waitcnt lgkmcnt(0)
	s_barrier
	ds_read2_b32 v[26:27], v24 offset1:4
	ds_read2_b32 v[28:29], v24 offset0:8 offset1:12
	ds_read_b128 v[0:3], v111 offset:256
	ds_read_b128 v[4:7], v111 offset:272
	;; [unrolled: 1-line block ×4, first 2 shown]
	ds_read2_b32 v[30:31], v24 offset0:16 offset1:20
	ds_read2_b32 v[32:33], v24 offset0:24 offset1:28
	ds_read2_b32 v[34:35], v24 offset0:32 offset1:36
	ds_read2_b32 v[36:37], v24 offset0:40 offset1:44
	ds_read2_b32 v[38:39], v24 offset0:48 offset1:52
	ds_read2_b32 v[40:41], v24 offset0:56 offset1:60
	s_ashr_i32 s31, s30, 31
	s_ashr_i32 s2, s40, 31
	;; [unrolled: 1-line block ×3, first 2 shown]
	s_cmp_eq_u64 s[18:19], 0
	s_waitcnt lgkmcnt(0)
	s_barrier
	s_cbranch_scc1 .LBB23_13
; %bb.12:
	s_load_dword s3, s[4:5], 0xd0
	s_mov_b32 s25, 0
	s_waitcnt lgkmcnt(0)
	s_mul_i32 s3, s3, s33
	s_add_i32 s24, s3, s6
	s_lshl_b64 s[24:25], s[24:25], 2
	s_add_u32 s18, s18, s24
	s_addc_u32 s19, s19, s25
	s_load_dword s34, s[18:19], 0x0
.LBB23_13:
	v_lshlrev_b32_e32 v17, 5, v97
	v_add_u32_e32 v105, v17, v99
	s_lshl_b32 s18, s7, 7
	s_mov_b32 s37, 0
	s_waitcnt lgkmcnt(0)
	s_cmp_ge_i32 s18, s34
	v_mov_b32_e32 v139, 0xfeffffff
	v_mov_b32_e32 v136, 0
	v_lshlrev_b32_e32 v107, 1, v105
	v_lshlrev_b32_e32 v109, 2, v99
	v_mov_b32_e32 v137, 0
	v_mov_b32_e32 v138, 0
	;; [unrolled: 1-line block ×3, first 2 shown]
	s_cbranch_scc1 .LBB23_25
; %bb.14:
	s_load_dwordx4 s[24:27], s[4:5], 0x98
	s_load_dwordx2 s[40:41], s[4:5], 0x8c
	s_xor_b32 s2, s31, s2
	s_mul_i32 s44, s44, s35
	v_add_f32_e32 v119, v5, v5
	s_waitcnt lgkmcnt(0)
	s_mul_i32 s3, s33, s25
	s_mul_hi_u32 s9, s33, s24
	s_add_i32 s3, s9, s3
	s_mul_i32 s9, s45, s42
	s_mul_i32 s19, s8, s24
	s_sub_i32 s9, s43, s9
	s_add_i32 s3, s3, s19
	s_add_i32 s19, s45, 1
	s_sub_i32 s25, s9, s42
	s_cmp_ge_u32 s9, s42
	s_cselect_b32 s19, s19, s45
	s_cselect_b32 s9, s25, s9
	s_add_i32 s25, s19, 1
	s_cmp_ge_u32 s9, s42
	s_cselect_b32 s9, s25, s19
	s_xor_b32 s9, s9, s2
	s_sub_i32 s9, s9, s2
	s_mul_i32 s2, s9, s41
	s_mul_i32 s24, s33, s24
	s_ashr_i32 s19, s2, 31
	s_add_u32 s24, s10, s24
	s_addc_u32 s3, s11, s3
	s_load_dwordx2 s[10:11], s[4:5], 0xa8
	v_mul_lo_u32 v48, v17, s26
	s_add_u32 s36, s24, s2
	v_add_u32_e32 v62, s26, v48
	s_addc_u32 s41, s3, s19
	s_waitcnt lgkmcnt(0)
	s_mul_i32 s11, s33, s11
	s_mul_hi_u32 s19, s33, s10
	v_add_u32_e32 v64, s26, v62
	s_add_i32 s11, s19, s11
	s_mul_i32 s19, s8, s10
	s_mul_i32 s9, s9, s27
	v_add_u32_e32 v66, s26, v64
	s_add_i32 s11, s11, s19
	s_mul_i32 s10, s33, s10
	s_ashr_i32 s19, s9, 31
	v_add_u32_e32 v68, s26, v66
	s_add_u32 s10, s12, s10
	v_add_u32_e32 v70, s26, v68
	s_addc_u32 s11, s13, s11
	v_add_u32_e32 v72, s26, v70
	s_add_u32 s9, s10, s9
	v_add_u32_e32 v74, s26, v72
	s_addc_u32 s10, s11, s19
	s_sub_i32 s11, s38, s44
	v_add_u32_e32 v76, s26, v74
	s_sub_i32 s12, s11, s35
	v_add_u32_e32 v78, s26, v76
	s_cmp_ge_u32 s11, s35
	v_add_u32_e32 v80, s26, v78
	s_cselect_b32 s11, s12, s11
	v_add_u32_e32 v82, s26, v80
	s_sub_i32 s12, s11, s35
	v_add_u32_e32 v84, s26, v82
	s_load_dwordx2 s[2:3], s[4:5], 0xc8
	s_load_dword s42, s[4:5], 0xd4
	s_cmp_ge_u32 s11, s35
	v_mbcnt_hi_u32_b32 v5, -1, v101
	v_add_u32_e32 v86, s26, v84
	s_cselect_b32 s11, s12, s11
	v_add_f32_e32 v113, v1, v1
	v_and_b32_e32 v1, 0x7c, v5
	v_add_u32_e32 v88, s26, v86
	s_xor_b32 s11, s11, s8
	v_add_f32_e32 v117, v3, v3
	v_add_u32_e32 v1, 4, v1
	v_xor_b32_e32 v3, 2, v5
	v_add_u32_e32 v90, s26, v88
	s_sub_i32 s8, s11, s8
	v_cmp_lt_i32_e32 vcc, v3, v1
	v_add_u32_e32 v92, s26, v90
	s_ashr_i32 s11, s8, 31
	s_waitcnt lgkmcnt(0)
	s_mul_i32 s3, s8, s3
	s_mul_hi_u32 s12, s8, s2
	v_cndmask_b32_e32 v3, v5, v3, vcc
	v_add_u32_e32 v94, s26, v92
	s_add_i32 s3, s12, s3
	s_mul_i32 s11, s11, s2
	v_lshlrev_b32_e32 v127, 2, v3
	v_xor_b32_e32 v3, 1, v5
	v_add_u32_e32 v96, s26, v94
	s_add_i32 s3, s3, s11
	s_mul_i32 s8, s8, s2
	v_cmp_lt_i32_e32 vcc, v3, v1
	v_add_u32_e32 v98, s26, v96
	s_add_u32 s2, s14, s8
	s_mul_i32 s8, s6, s39
	v_cndmask_b32_e32 v1, v5, v3, vcc
	v_add_u32_e32 v100, s26, v98
	s_addc_u32 s3, s15, s3
	s_ashr_i32 s11, s8, 31
	v_lshlrev_b32_e32 v128, 2, v1
	v_and_b32_e32 v1, 0x60, v5
	v_add_u32_e32 v102, s26, v100
	s_add_u32 s8, s2, s8
	s_mov_b32 s19, s37
	v_add_f32_e32 v121, v7, v7
	v_add_f32_e32 v123, v9, v9
	v_add_u32_e32 v7, 32, v1
	v_xor_b32_e32 v9, 4, v5
	v_add_u32_e32 v104, s26, v102
	s_addc_u32 s11, s3, s11
	s_lshl_b64 s[2:3], s[18:19], 1
	v_cmp_lt_i32_e32 vcc, v9, v7
	v_add_u32_e32 v106, s26, v104
	s_add_u32 s24, s8, s2
	v_cndmask_b32_e32 v9, v5, v9, vcc
	v_add_u32_e32 v108, s26, v106
	s_addc_u32 s25, s11, s3
	s_mul_i32 s2, s18, s26
	v_lshlrev_b32_e32 v129, 2, v9
	v_xor_b32_e32 v9, 8, v5
	v_add_u32_e32 v110, s26, v108
	s_add_u32 s19, s9, s2
	v_and_b32_e32 v18, 0x7c, v99
	v_cmp_lt_i32_e32 vcc, v9, v7
	v_add_u32_e32 v112, s26, v110
	s_addc_u32 s27, s10, 0
	s_mul_i32 s2, s18, s40
	v_add_u32_e32 v42, v17, v18
	v_cndmask_b32_e32 v9, v5, v9, vcc
	v_add_u32_e32 v114, s26, v112
	s_add_u32 s35, s36, s2
	v_mul_lo_u32 v44, v42, s40
	v_lshlrev_b32_e32 v130, 2, v9
	v_xor_b32_e32 v9, 16, v5
	v_add_u32_e32 v116, s26, v114
	s_addc_u32 s41, s41, 0
	v_add_u32_e32 v46, s40, v44
	v_cmp_lt_i32_e32 vcc, v9, v7
	v_add_u32_e32 v118, s26, v116
	s_cmp_lg_u64 s[14:15], 0
	v_cndmask_b32_e32 v5, v5, v9, vcc
	v_add_u32_e32 v54, s40, v46
	v_add_u32_e32 v120, s26, v118
	s_cselect_b64 s[38:39], -1, 0
	s_lshl_b32 s36, s42, 7
	v_lshlrev_b32_e32 v131, 2, v5
	v_add_u32_e32 v5, 0x80, v109
	v_add_u32_e32 v56, s40, v54
	;; [unrolled: 1-line block ×3, first 2 shown]
	v_mov_b32_e32 v135, 0
	v_or_b32_e32 v115, 16, v24
	v_add_f32_e32 v124, v11, v11
	v_add_f32_e32 v125, v13, v13
	;; [unrolled: 1-line block ×3, first 2 shown]
	s_mul_i32 s42, s36, s40
	s_mul_i32 s43, s36, s26
	v_cmp_eq_u32_e64 s[2:3], 3, v16
	v_ashrrev_i32_e32 v1, 31, v44
	v_cmp_eq_u32_e64 s[14:15], 0, v16
	v_ashrrev_i32_e32 v3, 31, v46
	v_cmp_eq_u32_e64 s[8:9], 1, v16
	v_cmp_eq_u32_e64 s[10:11], 2, v16
	v_lshlrev_b32_e32 v132, 1, v17
	v_lshrrev_b32_e32 v50, 5, v5
	v_and_b32_e32 v52, 28, v5
	v_mov_b32_e32 v20, 0xfeffffff
	s_mov_b32 s44, 0x1000706
	s_mov_b32 s45, 0x3fb8aa3b
	;; [unrolled: 1-line block ×4, first 2 shown]
	v_mov_b32_e32 v133, 0x7f800000
	v_mov_b32_e32 v138, 0
	;; [unrolled: 1-line block ×5, first 2 shown]
	v_ashrrev_i32_e32 v5, 31, v54
	v_ashrrev_i32_e32 v7, 31, v56
	;; [unrolled: 1-line block ×3, first 2 shown]
	v_bfe_u32 v58, v99, 3, 27
	v_and_b32_e32 v60, 28, v109
	v_ashrrev_i32_e32 v11, 31, v62
	v_ashrrev_i32_e32 v13, 31, v64
	v_ashrrev_i32_e32 v15, 31, v66
	v_ashrrev_i32_e32 v25, 31, v68
	v_ashrrev_i32_e32 v43, 31, v70
	v_ashrrev_i32_e32 v45, 31, v72
	v_ashrrev_i32_e32 v47, 31, v74
	v_ashrrev_i32_e32 v49, 31, v76
	v_ashrrev_i32_e32 v51, 31, v78
	v_ashrrev_i32_e32 v53, 31, v80
	v_ashrrev_i32_e32 v55, 31, v82
	v_ashrrev_i32_e32 v57, 31, v84
	v_ashrrev_i32_e32 v59, 31, v86
	v_ashrrev_i32_e32 v61, 31, v88
	v_ashrrev_i32_e32 v63, 31, v90
	v_ashrrev_i32_e32 v65, 31, v92
	v_ashrrev_i32_e32 v67, 31, v94
	v_ashrrev_i32_e32 v69, 31, v96
	v_ashrrev_i32_e32 v71, 31, v98
	v_ashrrev_i32_e32 v73, 31, v100
	v_ashrrev_i32_e32 v75, 31, v102
	v_ashrrev_i32_e32 v77, 31, v104
	v_ashrrev_i32_e32 v79, 31, v106
	v_ashrrev_i32_e32 v81, 31, v108
	v_ashrrev_i32_e32 v83, 31, v110
	v_ashrrev_i32_e32 v85, 31, v112
	v_ashrrev_i32_e32 v87, 31, v114
	v_ashrrev_i32_e32 v89, 31, v116
	v_ashrrev_i32_e32 v91, 31, v118
	v_ashrrev_i32_e32 v93, 31, v120
	v_ashrrev_i32_e32 v95, 31, v122
                                        ; implicit-def: $vgpr134
.LBB23_15:                              ; =>This Inner Loop Header: Depth=1
	v_add_co_u32_e32 v16, vcc, s35, v44
	v_mov_b32_e32 v17, s41
	v_addc_co_u32_e32 v17, vcc, v17, v1, vcc
	v_add_co_u32_e32 v18, vcc, v16, v24
	v_addc_co_u32_e32 v19, vcc, 0, v17, vcc
	global_load_dword v21, v[18:19], off offset:6
	global_load_dword v22, v[16:17], off
	global_load_ushort v23, v[16:17], off offset:4
	s_and_b64 vcc, exec, s[38:39]
	s_waitcnt vmcnt(2)
	v_and_b32_e32 v141, 0xf0f0f0f, v21
	v_lshrrev_b32_e32 v21, 4, v21
	s_waitcnt vmcnt(0)
	v_perm_b32 v23, v22, v23, s44
	v_ashrrev_i32_e32 v139, v24, v23
	v_lshlrev_b32_e32 v140, 4, v139
	v_lshlrev_b32_e32 v142, 11, v139
	v_lshlrev_b32_e32 v143, 18, v139
	v_lshlrev_b32_e32 v139, 25, v139
	v_and_b32_e32 v143, 0x100000, v143
	v_and_b32_e32 v139, 0x10000000, v139
	;; [unrolled: 1-line block ×4, first 2 shown]
	v_or3_b32 v139, v139, v141, v143
	v_or3_b32 v139, v139, v140, v142
	v_mov_b32_e32 v140, 0
	v_dot4c_i32_i8_e32 v140, v139, v26
	v_ashrrev_i32_e32 v23, v115, v23
	v_lshlrev_b32_e32 v141, 11, v23
	v_lshlrev_b32_e32 v142, 18, v23
	v_cvt_f32_i32_e32 v139, v140
	v_lshlrev_b32_e32 v140, 4, v23
	v_lshlrev_b32_e32 v23, 25, v23
	v_and_b32_e32 v21, 0xf0f0f0f, v21
	v_and_b32_e32 v142, 0x100000, v142
	;; [unrolled: 1-line block ×5, first 2 shown]
	v_or3_b32 v21, v23, v21, v142
	v_or3_b32 v21, v21, v140, v141
	v_mov_b32_e32 v23, 0
	v_dot4c_i32_i8_e32 v23, v21, v27
	v_fma_f32 v139, v0, v139, -v113
	v_fma_mix_f32 v139, v139, v22, 0 op_sel_hi:[0,1,0]
	s_nop 0
	v_cvt_f32_i32_e32 v21, v23
	v_fma_f32 v21, v0, v21, -v113
	v_fma_mix_f32 v21, v21, v22, v139 op_sel_hi:[0,1,0]
	global_load_dword v22, v[18:19], off offset:28
	global_load_dword v23, v[16:17], off offset:22
	global_load_ushort v139, v[16:17], off offset:26
	s_waitcnt vmcnt(2)
	v_and_b32_e32 v142, 0xf0f0f0f, v22
	v_lshrrev_b32_e32 v22, 4, v22
	s_waitcnt vmcnt(0)
	v_perm_b32 v139, v23, v139, s44
	v_ashrrev_i32_e32 v140, v24, v139
	v_lshlrev_b32_e32 v141, 4, v140
	v_lshlrev_b32_e32 v143, 11, v140
	v_lshlrev_b32_e32 v144, 18, v140
	v_lshlrev_b32_e32 v140, 25, v140
	v_and_b32_e32 v144, 0x100000, v144
	v_and_b32_e32 v140, 0x10000000, v140
	v_and_b32_e32 v141, 16, v141
	v_and_b32_e32 v143, 0x1000, v143
	v_or3_b32 v140, v140, v142, v144
	v_or3_b32 v140, v140, v141, v143
	v_mov_b32_e32 v141, 0
	v_dot4c_i32_i8_e32 v141, v140, v28
	v_ashrrev_i32_e32 v139, v115, v139
	v_lshlrev_b32_e32 v142, 18, v139
	v_and_b32_e32 v22, 0xf0f0f0f, v22
	v_cvt_f32_i32_e32 v140, v141
	v_lshlrev_b32_e32 v141, 11, v139
	v_and_b32_e32 v142, 0x100000, v142
	v_and_b32_e32 v141, 0x1000, v141
	v_fma_f32 v140, v2, v140, -v117
	v_fma_mix_f32 v21, v140, v23, v21 op_sel_hi:[0,1,0]
	v_lshlrev_b32_e32 v140, 4, v139
	v_lshlrev_b32_e32 v139, 25, v139
	v_and_b32_e32 v139, 0x10000000, v139
	v_and_b32_e32 v140, 16, v140
	v_or3_b32 v22, v139, v22, v142
	v_or3_b32 v22, v22, v140, v141
	v_mov_b32_e32 v139, 0
	v_dot4c_i32_i8_e32 v139, v22, v29
	s_nop 2
	v_cvt_f32_i32_e32 v22, v139
	v_fma_f32 v22, v2, v22, -v117
	v_fma_mix_f32 v21, v22, v23, v21 op_sel_hi:[0,1,0]
	global_load_dword v22, v[18:19], off offset:50
	global_load_dword v23, v[16:17], off offset:44
	global_load_ushort v139, v[16:17], off offset:48
	s_waitcnt vmcnt(2)
	v_and_b32_e32 v142, 0xf0f0f0f, v22
	v_lshrrev_b32_e32 v22, 4, v22
	s_waitcnt vmcnt(0)
	v_perm_b32 v139, v23, v139, s44
	v_ashrrev_i32_e32 v140, v24, v139
	v_lshlrev_b32_e32 v141, 4, v140
	v_lshlrev_b32_e32 v143, 11, v140
	v_lshlrev_b32_e32 v144, 18, v140
	v_lshlrev_b32_e32 v140, 25, v140
	v_and_b32_e32 v144, 0x100000, v144
	v_and_b32_e32 v140, 0x10000000, v140
	v_and_b32_e32 v141, 16, v141
	v_and_b32_e32 v143, 0x1000, v143
	v_or3_b32 v140, v140, v142, v144
	v_or3_b32 v140, v140, v141, v143
	v_mov_b32_e32 v141, 0
	v_dot4c_i32_i8_e32 v141, v140, v30
	v_ashrrev_i32_e32 v139, v115, v139
	v_lshlrev_b32_e32 v142, 18, v139
	v_and_b32_e32 v22, 0xf0f0f0f, v22
	v_cvt_f32_i32_e32 v140, v141
	v_lshlrev_b32_e32 v141, 11, v139
	v_and_b32_e32 v142, 0x100000, v142
	v_and_b32_e32 v141, 0x1000, v141
	v_fma_f32 v140, v4, v140, -v119
	v_fma_mix_f32 v21, v140, v23, v21 op_sel_hi:[0,1,0]
	v_lshlrev_b32_e32 v140, 4, v139
	v_lshlrev_b32_e32 v139, 25, v139
	v_and_b32_e32 v139, 0x10000000, v139
	v_and_b32_e32 v140, 16, v140
	v_or3_b32 v22, v139, v22, v142
	v_or3_b32 v22, v22, v140, v141
	v_mov_b32_e32 v139, 0
	v_dot4c_i32_i8_e32 v139, v22, v31
	;; [unrolled: 42-line block ×5, first 2 shown]
	s_nop 2
	v_cvt_f32_i32_e32 v22, v139
	v_fma_f32 v22, v10, v22, -v124
	v_fma_mix_f32 v21, v22, v23, v21 op_sel_hi:[0,1,0]
	global_load_dword v22, v[18:19], off offset:138
	global_load_dword v23, v[16:17], off offset:132
	global_load_ushort v139, v[16:17], off offset:136
	s_nop 0
	global_load_dword v18, v[18:19], off offset:160
	s_nop 0
	global_load_dword v19, v[16:17], off offset:154
	s_nop 0
	global_load_ushort v16, v[16:17], off offset:158
	s_waitcnt vmcnt(5)
	v_and_b32_e32 v142, 0xf0f0f0f, v22
	v_lshrrev_b32_e32 v22, 4, v22
	s_waitcnt vmcnt(3)
	v_perm_b32 v139, v23, v139, s44
	v_ashrrev_i32_e32 v140, v24, v139
	v_lshlrev_b32_e32 v141, 4, v140
	v_lshlrev_b32_e32 v143, 11, v140
	;; [unrolled: 1-line block ×4, first 2 shown]
	v_and_b32_e32 v144, 0x100000, v144
	v_and_b32_e32 v140, 0x10000000, v140
	;; [unrolled: 1-line block ×4, first 2 shown]
	v_or3_b32 v140, v140, v142, v144
	v_or3_b32 v140, v140, v141, v143
	v_mov_b32_e32 v141, 0
	v_dot4c_i32_i8_e32 v141, v140, v38
	v_ashrrev_i32_e32 v139, v115, v139
	v_lshlrev_b32_e32 v142, 18, v139
	v_and_b32_e32 v22, 0xf0f0f0f, v22
	v_cvt_f32_i32_e32 v140, v141
	v_lshlrev_b32_e32 v141, 11, v139
	v_and_b32_e32 v142, 0x100000, v142
	v_and_b32_e32 v141, 0x1000, v141
	v_fma_f32 v140, v12, v140, -v125
	v_fma_mix_f32 v21, v140, v23, v21 op_sel_hi:[0,1,0]
	v_lshlrev_b32_e32 v140, 4, v139
	v_lshlrev_b32_e32 v139, 25, v139
	v_and_b32_e32 v139, 0x10000000, v139
	v_and_b32_e32 v140, 16, v140
	v_or3_b32 v22, v139, v22, v142
	v_or3_b32 v22, v22, v140, v141
	v_mov_b32_e32 v139, 0
	v_dot4c_i32_i8_e32 v139, v22, v39
	s_waitcnt vmcnt(0)
	v_perm_b32 v16, v19, v16, s44
	v_ashrrev_i32_e32 v17, v24, v16
	v_lshlrev_b32_e32 v140, 18, v17
	v_cvt_f32_i32_e32 v22, v139
	v_lshlrev_b32_e32 v139, 11, v17
	v_and_b32_e32 v140, 0x100000, v140
	v_and_b32_e32 v139, 0x1000, v139
	v_fma_f32 v22, v12, v22, -v125
	v_fma_mix_f32 v21, v22, v23, v21 op_sel_hi:[0,1,0]
	v_lshlrev_b32_e32 v22, 4, v17
	v_lshlrev_b32_e32 v17, 25, v17
	v_and_b32_e32 v23, 0xf0f0f0f, v18
	v_and_b32_e32 v17, 0x10000000, v17
	;; [unrolled: 1-line block ×3, first 2 shown]
	v_or3_b32 v17, v17, v23, v140
	v_or3_b32 v17, v17, v22, v139
	v_mov_b32_e32 v22, 0
	v_dot4c_i32_i8_e32 v22, v17, v40
	v_ashrrev_i32_e32 v16, v115, v16
	v_lshrrev_b32_e32 v18, 4, v18
	v_lshlrev_b32_e32 v23, 18, v16
	v_cvt_f32_i32_e32 v17, v22
	v_lshlrev_b32_e32 v22, 11, v16
	v_and_b32_e32 v18, 0xf0f0f0f, v18
	v_and_b32_e32 v23, 0x100000, v23
	v_fma_f32 v17, v14, v17, -v126
	v_fma_mix_f32 v17, v17, v19, v21 op_sel_hi:[0,1,0]
	v_lshlrev_b32_e32 v21, 4, v16
	v_lshlrev_b32_e32 v16, 25, v16
	v_and_b32_e32 v16, 0x10000000, v16
	v_and_b32_e32 v21, 16, v21
	;; [unrolled: 1-line block ×3, first 2 shown]
	v_or3_b32 v16, v16, v18, v23
	v_or3_b32 v16, v16, v21, v22
	v_mov_b32_e32 v18, 0
	v_dot4c_i32_i8_e32 v18, v16, v41
	v_lshlrev_b32_e32 v22, 1, v42
	s_nop 1
	v_cvt_f32_i32_e32 v16, v18
	v_fma_f32 v16, v14, v16, -v126
	v_fma_mix_f32 v16, v16, v19, v17 op_sel_hi:[0,1,0]
	ds_bpermute_b32 v17, v127, v16
	s_waitcnt lgkmcnt(0)
	v_add_f32_e32 v16, v16, v17
	ds_bpermute_b32 v17, v128, v16
	s_waitcnt lgkmcnt(0)
	v_add_f32_e32 v21, v16, v17
	s_cbranch_vccz .LBB23_17
; %bb.16:                               ;   in Loop: Header=BB23_15 Depth=1
	global_load_ushort v16, v22, s[24:25]
	s_waitcnt vmcnt(0)
	v_fma_mix_f32 v21, v103, v16, v21 op_sel_hi:[0,1,0]
.LBB23_17:                              ;   in Loop: Header=BB23_15 Depth=1
	v_add_co_u32_e32 v16, vcc, s35, v46
	v_mov_b32_e32 v17, s41
	v_addc_co_u32_e32 v17, vcc, v17, v3, vcc
	v_add_co_u32_e32 v18, vcc, v16, v24
	v_addc_co_u32_e32 v19, vcc, 0, v17, vcc
	global_load_dword v23, v[18:19], off offset:6
	global_load_dword v139, v[16:17], off
	global_load_ushort v140, v[16:17], off offset:4
	s_andn2_b64 vcc, exec, s[38:39]
	s_waitcnt vmcnt(2)
	v_and_b32_e32 v143, 0xf0f0f0f, v23
	v_lshrrev_b32_e32 v23, 4, v23
	s_waitcnt vmcnt(0)
	v_perm_b32 v140, v139, v140, s44
	v_ashrrev_i32_e32 v141, v24, v140
	v_lshlrev_b32_e32 v142, 4, v141
	v_lshlrev_b32_e32 v144, 11, v141
	v_lshlrev_b32_e32 v145, 18, v141
	v_lshlrev_b32_e32 v141, 25, v141
	v_and_b32_e32 v145, 0x100000, v145
	v_and_b32_e32 v141, 0x10000000, v141
	;; [unrolled: 1-line block ×4, first 2 shown]
	v_or3_b32 v141, v141, v143, v145
	v_or3_b32 v141, v141, v142, v144
	v_mov_b32_e32 v142, 0
	v_dot4c_i32_i8_e32 v142, v141, v26
	v_ashrrev_i32_e32 v140, v115, v140
	v_lshlrev_b32_e32 v143, 11, v140
	v_lshlrev_b32_e32 v144, 18, v140
	v_cvt_f32_i32_e32 v141, v142
	v_lshlrev_b32_e32 v142, 4, v140
	v_lshlrev_b32_e32 v140, 25, v140
	v_and_b32_e32 v23, 0xf0f0f0f, v23
	v_and_b32_e32 v144, 0x100000, v144
	;; [unrolled: 1-line block ×5, first 2 shown]
	v_or3_b32 v23, v140, v23, v144
	v_or3_b32 v23, v23, v142, v143
	v_mov_b32_e32 v140, 0
	v_dot4c_i32_i8_e32 v140, v23, v27
	v_fma_f32 v141, v0, v141, -v113
	v_fma_mix_f32 v141, v141, v139, 0 op_sel_hi:[0,1,0]
	s_nop 0
	v_cvt_f32_i32_e32 v23, v140
	v_fma_f32 v23, v0, v23, -v113
	v_fma_mix_f32 v23, v23, v139, v141 op_sel_hi:[0,1,0]
	global_load_dword v139, v[18:19], off offset:28
	global_load_dword v140, v[16:17], off offset:22
	global_load_ushort v141, v[16:17], off offset:26
	s_waitcnt vmcnt(2)
	v_and_b32_e32 v144, 0xf0f0f0f, v139
	v_lshrrev_b32_e32 v139, 4, v139
	s_waitcnt vmcnt(0)
	v_perm_b32 v141, v140, v141, s44
	v_ashrrev_i32_e32 v142, v24, v141
	v_lshlrev_b32_e32 v143, 4, v142
	v_lshlrev_b32_e32 v145, 11, v142
	v_lshlrev_b32_e32 v146, 18, v142
	v_lshlrev_b32_e32 v142, 25, v142
	v_and_b32_e32 v146, 0x100000, v146
	v_and_b32_e32 v142, 0x10000000, v142
	v_and_b32_e32 v143, 16, v143
	v_and_b32_e32 v145, 0x1000, v145
	v_or3_b32 v142, v142, v144, v146
	v_or3_b32 v142, v142, v143, v145
	v_mov_b32_e32 v143, 0
	v_dot4c_i32_i8_e32 v143, v142, v28
	v_ashrrev_i32_e32 v141, v115, v141
	v_lshlrev_b32_e32 v144, 18, v141
	v_and_b32_e32 v139, 0xf0f0f0f, v139
	v_cvt_f32_i32_e32 v142, v143
	v_lshlrev_b32_e32 v143, 11, v141
	v_and_b32_e32 v144, 0x100000, v144
	v_and_b32_e32 v143, 0x1000, v143
	v_fma_f32 v142, v2, v142, -v117
	v_fma_mix_f32 v23, v142, v140, v23 op_sel_hi:[0,1,0]
	v_lshlrev_b32_e32 v142, 4, v141
	v_lshlrev_b32_e32 v141, 25, v141
	v_and_b32_e32 v141, 0x10000000, v141
	v_and_b32_e32 v142, 16, v142
	v_or3_b32 v139, v141, v139, v144
	v_or3_b32 v139, v139, v142, v143
	v_mov_b32_e32 v141, 0
	v_dot4c_i32_i8_e32 v141, v139, v29
	s_nop 2
	v_cvt_f32_i32_e32 v139, v141
	v_fma_f32 v139, v2, v139, -v117
	v_fma_mix_f32 v23, v139, v140, v23 op_sel_hi:[0,1,0]
	global_load_dword v139, v[18:19], off offset:50
	global_load_dword v140, v[16:17], off offset:44
	global_load_ushort v141, v[16:17], off offset:48
	s_waitcnt vmcnt(2)
	v_and_b32_e32 v144, 0xf0f0f0f, v139
	v_lshrrev_b32_e32 v139, 4, v139
	s_waitcnt vmcnt(0)
	v_perm_b32 v141, v140, v141, s44
	v_ashrrev_i32_e32 v142, v24, v141
	v_lshlrev_b32_e32 v143, 4, v142
	v_lshlrev_b32_e32 v145, 11, v142
	v_lshlrev_b32_e32 v146, 18, v142
	v_lshlrev_b32_e32 v142, 25, v142
	v_and_b32_e32 v146, 0x100000, v146
	v_and_b32_e32 v142, 0x10000000, v142
	v_and_b32_e32 v143, 16, v143
	v_and_b32_e32 v145, 0x1000, v145
	v_or3_b32 v142, v142, v144, v146
	v_or3_b32 v142, v142, v143, v145
	v_mov_b32_e32 v143, 0
	v_dot4c_i32_i8_e32 v143, v142, v30
	v_ashrrev_i32_e32 v141, v115, v141
	v_lshlrev_b32_e32 v144, 18, v141
	v_and_b32_e32 v139, 0xf0f0f0f, v139
	v_cvt_f32_i32_e32 v142, v143
	v_lshlrev_b32_e32 v143, 11, v141
	v_and_b32_e32 v144, 0x100000, v144
	v_and_b32_e32 v143, 0x1000, v143
	v_fma_f32 v142, v4, v142, -v119
	v_fma_mix_f32 v23, v142, v140, v23 op_sel_hi:[0,1,0]
	v_lshlrev_b32_e32 v142, 4, v141
	v_lshlrev_b32_e32 v141, 25, v141
	v_and_b32_e32 v141, 0x10000000, v141
	v_and_b32_e32 v142, 16, v142
	v_or3_b32 v139, v141, v139, v144
	v_or3_b32 v139, v139, v142, v143
	v_mov_b32_e32 v141, 0
	v_dot4c_i32_i8_e32 v141, v139, v31
	;; [unrolled: 42-line block ×5, first 2 shown]
	s_nop 2
	v_cvt_f32_i32_e32 v139, v141
	v_fma_f32 v139, v10, v139, -v124
	v_fma_mix_f32 v23, v139, v140, v23 op_sel_hi:[0,1,0]
	global_load_dword v139, v[18:19], off offset:138
	global_load_dword v140, v[16:17], off offset:132
	global_load_ushort v141, v[16:17], off offset:136
	s_nop 0
	global_load_dword v18, v[18:19], off offset:160
	s_nop 0
	global_load_dword v19, v[16:17], off offset:154
	s_nop 0
	global_load_ushort v16, v[16:17], off offset:158
	s_waitcnt vmcnt(5)
	v_and_b32_e32 v144, 0xf0f0f0f, v139
	v_lshrrev_b32_e32 v139, 4, v139
	s_waitcnt vmcnt(3)
	v_perm_b32 v141, v140, v141, s44
	v_ashrrev_i32_e32 v142, v24, v141
	v_lshlrev_b32_e32 v143, 4, v142
	v_lshlrev_b32_e32 v145, 11, v142
	;; [unrolled: 1-line block ×4, first 2 shown]
	v_and_b32_e32 v146, 0x100000, v146
	v_and_b32_e32 v142, 0x10000000, v142
	;; [unrolled: 1-line block ×4, first 2 shown]
	v_or3_b32 v142, v142, v144, v146
	v_or3_b32 v142, v142, v143, v145
	v_mov_b32_e32 v143, 0
	v_dot4c_i32_i8_e32 v143, v142, v38
	v_ashrrev_i32_e32 v141, v115, v141
	v_lshlrev_b32_e32 v144, 18, v141
	v_and_b32_e32 v139, 0xf0f0f0f, v139
	v_cvt_f32_i32_e32 v142, v143
	v_lshlrev_b32_e32 v143, 11, v141
	v_and_b32_e32 v144, 0x100000, v144
	v_and_b32_e32 v143, 0x1000, v143
	v_fma_f32 v142, v12, v142, -v125
	v_fma_mix_f32 v23, v142, v140, v23 op_sel_hi:[0,1,0]
	v_lshlrev_b32_e32 v142, 4, v141
	v_lshlrev_b32_e32 v141, 25, v141
	v_and_b32_e32 v141, 0x10000000, v141
	v_and_b32_e32 v142, 16, v142
	v_or3_b32 v139, v141, v139, v144
	v_or3_b32 v139, v139, v142, v143
	v_mov_b32_e32 v141, 0
	v_dot4c_i32_i8_e32 v141, v139, v39
	s_waitcnt vmcnt(0)
	v_perm_b32 v16, v19, v16, s44
	v_ashrrev_i32_e32 v17, v24, v16
	v_lshlrev_b32_e32 v142, 18, v17
	v_cvt_f32_i32_e32 v139, v141
	v_lshlrev_b32_e32 v141, 11, v17
	v_and_b32_e32 v142, 0x100000, v142
	v_and_b32_e32 v141, 0x1000, v141
	v_fma_f32 v139, v12, v139, -v125
	v_fma_mix_f32 v23, v139, v140, v23 op_sel_hi:[0,1,0]
	v_lshlrev_b32_e32 v139, 4, v17
	v_lshlrev_b32_e32 v17, 25, v17
	v_and_b32_e32 v140, 0xf0f0f0f, v18
	v_and_b32_e32 v17, 0x10000000, v17
	v_and_b32_e32 v139, 16, v139
	v_or3_b32 v17, v17, v140, v142
	v_or3_b32 v17, v17, v139, v141
	v_mov_b32_e32 v139, 0
	v_dot4c_i32_i8_e32 v139, v17, v40
	v_ashrrev_i32_e32 v16, v115, v16
	v_lshrrev_b32_e32 v18, 4, v18
	v_lshlrev_b32_e32 v140, 18, v16
	v_cvt_f32_i32_e32 v17, v139
	v_lshlrev_b32_e32 v139, 11, v16
	v_and_b32_e32 v18, 0xf0f0f0f, v18
	v_and_b32_e32 v140, 0x100000, v140
	v_fma_f32 v17, v14, v17, -v126
	v_fma_mix_f32 v17, v17, v19, v23 op_sel_hi:[0,1,0]
	v_lshlrev_b32_e32 v23, 4, v16
	v_lshlrev_b32_e32 v16, 25, v16
	v_and_b32_e32 v16, 0x10000000, v16
	v_and_b32_e32 v23, 16, v23
	;; [unrolled: 1-line block ×3, first 2 shown]
	v_or3_b32 v16, v16, v18, v140
	v_or3_b32 v16, v16, v23, v139
	v_mov_b32_e32 v18, 0
	v_dot4c_i32_i8_e32 v18, v16, v41
	s_nop 2
	v_cvt_f32_i32_e32 v16, v18
	v_fma_f32 v16, v14, v16, -v126
	v_fma_mix_f32 v16, v16, v19, v17 op_sel_hi:[0,1,0]
	ds_bpermute_b32 v17, v127, v16
	s_waitcnt lgkmcnt(0)
	v_add_f32_e32 v16, v16, v17
	ds_bpermute_b32 v17, v128, v16
	s_waitcnt lgkmcnt(0)
	v_add_f32_e32 v23, v16, v17
	v_cndmask_b32_e64 v16, 0, 1, s[38:39]
	v_cmp_ne_u32_e64 s[12:13], 1, v16
	s_cbranch_vccnz .LBB23_19
; %bb.18:                               ;   in Loop: Header=BB23_15 Depth=1
	global_load_ushort v16, v22, s[24:25] offset:2
	s_waitcnt vmcnt(0)
	v_fma_mix_f32 v23, v103, v16, v23 op_sel_hi:[0,1,0]
.LBB23_19:                              ;   in Loop: Header=BB23_15 Depth=1
	v_add_co_u32_e32 v16, vcc, s35, v54
	v_mov_b32_e32 v17, s41
	v_addc_co_u32_e32 v17, vcc, v17, v5, vcc
	v_add_co_u32_e32 v18, vcc, v16, v24
	v_addc_co_u32_e32 v19, vcc, 0, v17, vcc
	global_load_dword v139, v[18:19], off offset:6
	global_load_dword v140, v[16:17], off
	global_load_ushort v141, v[16:17], off offset:4
	s_and_b64 vcc, exec, s[12:13]
	s_waitcnt vmcnt(2)
	v_and_b32_e32 v144, 0xf0f0f0f, v139
	v_lshrrev_b32_e32 v139, 4, v139
	s_waitcnt vmcnt(0)
	v_perm_b32 v141, v140, v141, s44
	v_ashrrev_i32_e32 v142, v24, v141
	v_lshlrev_b32_e32 v143, 4, v142
	v_lshlrev_b32_e32 v145, 11, v142
	;; [unrolled: 1-line block ×4, first 2 shown]
	v_and_b32_e32 v146, 0x100000, v146
	v_and_b32_e32 v142, 0x10000000, v142
	;; [unrolled: 1-line block ×4, first 2 shown]
	v_or3_b32 v142, v142, v144, v146
	v_or3_b32 v142, v142, v143, v145
	v_mov_b32_e32 v143, 0
	v_dot4c_i32_i8_e32 v143, v142, v26
	v_ashrrev_i32_e32 v141, v115, v141
	v_lshlrev_b32_e32 v144, 11, v141
	v_lshlrev_b32_e32 v145, 18, v141
	v_cvt_f32_i32_e32 v142, v143
	v_lshlrev_b32_e32 v143, 4, v141
	v_lshlrev_b32_e32 v141, 25, v141
	v_and_b32_e32 v139, 0xf0f0f0f, v139
	v_and_b32_e32 v145, 0x100000, v145
	;; [unrolled: 1-line block ×5, first 2 shown]
	v_or3_b32 v139, v141, v139, v145
	v_or3_b32 v139, v139, v143, v144
	v_mov_b32_e32 v141, 0
	v_dot4c_i32_i8_e32 v141, v139, v27
	v_fma_f32 v142, v0, v142, -v113
	v_fma_mix_f32 v142, v142, v140, 0 op_sel_hi:[0,1,0]
	s_nop 0
	v_cvt_f32_i32_e32 v139, v141
	v_fma_f32 v139, v0, v139, -v113
	v_fma_mix_f32 v139, v139, v140, v142 op_sel_hi:[0,1,0]
	global_load_dword v140, v[18:19], off offset:28
	global_load_dword v141, v[16:17], off offset:22
	global_load_ushort v142, v[16:17], off offset:26
	s_waitcnt vmcnt(2)
	v_and_b32_e32 v145, 0xf0f0f0f, v140
	v_lshrrev_b32_e32 v140, 4, v140
	s_waitcnt vmcnt(0)
	v_perm_b32 v142, v141, v142, s44
	v_ashrrev_i32_e32 v143, v24, v142
	v_lshlrev_b32_e32 v144, 4, v143
	v_lshlrev_b32_e32 v146, 11, v143
	v_lshlrev_b32_e32 v147, 18, v143
	v_lshlrev_b32_e32 v143, 25, v143
	v_and_b32_e32 v147, 0x100000, v147
	v_and_b32_e32 v143, 0x10000000, v143
	v_and_b32_e32 v144, 16, v144
	v_and_b32_e32 v146, 0x1000, v146
	v_or3_b32 v143, v143, v145, v147
	v_or3_b32 v143, v143, v144, v146
	v_mov_b32_e32 v144, 0
	v_dot4c_i32_i8_e32 v144, v143, v28
	v_ashrrev_i32_e32 v142, v115, v142
	v_lshlrev_b32_e32 v145, 18, v142
	v_and_b32_e32 v140, 0xf0f0f0f, v140
	v_cvt_f32_i32_e32 v143, v144
	v_lshlrev_b32_e32 v144, 11, v142
	v_and_b32_e32 v145, 0x100000, v145
	v_and_b32_e32 v144, 0x1000, v144
	v_fma_f32 v143, v2, v143, -v117
	v_fma_mix_f32 v139, v143, v141, v139 op_sel_hi:[0,1,0]
	v_lshlrev_b32_e32 v143, 4, v142
	v_lshlrev_b32_e32 v142, 25, v142
	v_and_b32_e32 v142, 0x10000000, v142
	v_and_b32_e32 v143, 16, v143
	v_or3_b32 v140, v142, v140, v145
	v_or3_b32 v140, v140, v143, v144
	v_mov_b32_e32 v142, 0
	v_dot4c_i32_i8_e32 v142, v140, v29
	s_nop 2
	v_cvt_f32_i32_e32 v140, v142
	v_fma_f32 v140, v2, v140, -v117
	v_fma_mix_f32 v139, v140, v141, v139 op_sel_hi:[0,1,0]
	global_load_dword v140, v[18:19], off offset:50
	global_load_dword v141, v[16:17], off offset:44
	global_load_ushort v142, v[16:17], off offset:48
	s_waitcnt vmcnt(2)
	v_and_b32_e32 v145, 0xf0f0f0f, v140
	v_lshrrev_b32_e32 v140, 4, v140
	s_waitcnt vmcnt(0)
	v_perm_b32 v142, v141, v142, s44
	v_ashrrev_i32_e32 v143, v24, v142
	v_lshlrev_b32_e32 v144, 4, v143
	v_lshlrev_b32_e32 v146, 11, v143
	v_lshlrev_b32_e32 v147, 18, v143
	v_lshlrev_b32_e32 v143, 25, v143
	v_and_b32_e32 v147, 0x100000, v147
	v_and_b32_e32 v143, 0x10000000, v143
	v_and_b32_e32 v144, 16, v144
	v_and_b32_e32 v146, 0x1000, v146
	v_or3_b32 v143, v143, v145, v147
	v_or3_b32 v143, v143, v144, v146
	v_mov_b32_e32 v144, 0
	v_dot4c_i32_i8_e32 v144, v143, v30
	v_ashrrev_i32_e32 v142, v115, v142
	v_lshlrev_b32_e32 v145, 18, v142
	v_and_b32_e32 v140, 0xf0f0f0f, v140
	v_cvt_f32_i32_e32 v143, v144
	v_lshlrev_b32_e32 v144, 11, v142
	v_and_b32_e32 v145, 0x100000, v145
	v_and_b32_e32 v144, 0x1000, v144
	v_fma_f32 v143, v4, v143, -v119
	v_fma_mix_f32 v139, v143, v141, v139 op_sel_hi:[0,1,0]
	v_lshlrev_b32_e32 v143, 4, v142
	v_lshlrev_b32_e32 v142, 25, v142
	v_and_b32_e32 v142, 0x10000000, v142
	v_and_b32_e32 v143, 16, v143
	v_or3_b32 v140, v142, v140, v145
	v_or3_b32 v140, v140, v143, v144
	v_mov_b32_e32 v142, 0
	v_dot4c_i32_i8_e32 v142, v140, v31
	;; [unrolled: 42-line block ×5, first 2 shown]
	s_nop 2
	v_cvt_f32_i32_e32 v140, v142
	v_fma_f32 v140, v10, v140, -v124
	v_fma_mix_f32 v139, v140, v141, v139 op_sel_hi:[0,1,0]
	global_load_dword v140, v[18:19], off offset:138
	global_load_dword v141, v[16:17], off offset:132
	global_load_ushort v142, v[16:17], off offset:136
	s_nop 0
	global_load_dword v18, v[18:19], off offset:160
	s_nop 0
	global_load_dword v19, v[16:17], off offset:154
	s_nop 0
	global_load_ushort v16, v[16:17], off offset:158
	s_waitcnt vmcnt(5)
	v_and_b32_e32 v145, 0xf0f0f0f, v140
	v_lshrrev_b32_e32 v140, 4, v140
	s_waitcnt vmcnt(3)
	v_perm_b32 v142, v141, v142, s44
	v_ashrrev_i32_e32 v143, v24, v142
	v_lshlrev_b32_e32 v144, 4, v143
	v_lshlrev_b32_e32 v146, 11, v143
	;; [unrolled: 1-line block ×4, first 2 shown]
	v_and_b32_e32 v147, 0x100000, v147
	v_and_b32_e32 v143, 0x10000000, v143
	;; [unrolled: 1-line block ×4, first 2 shown]
	v_or3_b32 v143, v143, v145, v147
	v_or3_b32 v143, v143, v144, v146
	v_mov_b32_e32 v144, 0
	v_dot4c_i32_i8_e32 v144, v143, v38
	v_ashrrev_i32_e32 v142, v115, v142
	v_lshlrev_b32_e32 v145, 18, v142
	v_and_b32_e32 v140, 0xf0f0f0f, v140
	v_cvt_f32_i32_e32 v143, v144
	v_lshlrev_b32_e32 v144, 11, v142
	v_and_b32_e32 v145, 0x100000, v145
	v_and_b32_e32 v144, 0x1000, v144
	v_fma_f32 v143, v12, v143, -v125
	v_fma_mix_f32 v139, v143, v141, v139 op_sel_hi:[0,1,0]
	v_lshlrev_b32_e32 v143, 4, v142
	v_lshlrev_b32_e32 v142, 25, v142
	v_and_b32_e32 v142, 0x10000000, v142
	v_and_b32_e32 v143, 16, v143
	v_or3_b32 v140, v142, v140, v145
	v_or3_b32 v140, v140, v143, v144
	v_mov_b32_e32 v142, 0
	v_dot4c_i32_i8_e32 v142, v140, v39
	s_waitcnt vmcnt(0)
	v_perm_b32 v16, v19, v16, s44
	v_ashrrev_i32_e32 v17, v24, v16
	v_lshlrev_b32_e32 v143, 18, v17
	v_cvt_f32_i32_e32 v140, v142
	v_lshlrev_b32_e32 v142, 11, v17
	v_and_b32_e32 v143, 0x100000, v143
	v_and_b32_e32 v142, 0x1000, v142
	v_fma_f32 v140, v12, v140, -v125
	v_fma_mix_f32 v139, v140, v141, v139 op_sel_hi:[0,1,0]
	v_lshlrev_b32_e32 v140, 4, v17
	v_lshlrev_b32_e32 v17, 25, v17
	v_and_b32_e32 v141, 0xf0f0f0f, v18
	v_and_b32_e32 v17, 0x10000000, v17
	;; [unrolled: 1-line block ×3, first 2 shown]
	v_or3_b32 v17, v17, v141, v143
	v_or3_b32 v17, v17, v140, v142
	v_mov_b32_e32 v140, 0
	v_dot4c_i32_i8_e32 v140, v17, v40
	v_ashrrev_i32_e32 v16, v115, v16
	v_lshrrev_b32_e32 v18, 4, v18
	v_lshlrev_b32_e32 v141, 18, v16
	v_cvt_f32_i32_e32 v17, v140
	v_lshlrev_b32_e32 v140, 11, v16
	v_and_b32_e32 v18, 0xf0f0f0f, v18
	v_and_b32_e32 v141, 0x100000, v141
	v_fma_f32 v17, v14, v17, -v126
	v_fma_mix_f32 v17, v17, v19, v139 op_sel_hi:[0,1,0]
	v_lshlrev_b32_e32 v139, 4, v16
	v_lshlrev_b32_e32 v16, 25, v16
	v_and_b32_e32 v16, 0x10000000, v16
	v_and_b32_e32 v139, 16, v139
	;; [unrolled: 1-line block ×3, first 2 shown]
	v_or3_b32 v16, v16, v18, v141
	v_or3_b32 v16, v16, v139, v140
	v_mov_b32_e32 v18, 0
	v_dot4c_i32_i8_e32 v18, v16, v41
	s_nop 2
	v_cvt_f32_i32_e32 v16, v18
	v_fma_f32 v16, v14, v16, -v126
	v_fma_mix_f32 v16, v16, v19, v17 op_sel_hi:[0,1,0]
	ds_bpermute_b32 v17, v127, v16
	s_waitcnt lgkmcnt(0)
	v_add_f32_e32 v16, v16, v17
	ds_bpermute_b32 v17, v128, v16
	s_waitcnt lgkmcnt(0)
	v_add_f32_e32 v139, v16, v17
	s_cbranch_vccnz .LBB23_21
; %bb.20:                               ;   in Loop: Header=BB23_15 Depth=1
	global_load_ushort v16, v22, s[24:25] offset:4
	s_waitcnt vmcnt(0)
	v_fma_mix_f32 v139, v103, v16, v139 op_sel_hi:[0,1,0]
.LBB23_21:                              ;   in Loop: Header=BB23_15 Depth=1
	v_add_co_u32_e32 v16, vcc, s35, v56
	v_mov_b32_e32 v17, s41
	v_addc_co_u32_e32 v17, vcc, v17, v7, vcc
	v_add_co_u32_e32 v18, vcc, v16, v24
	v_addc_co_u32_e32 v19, vcc, 0, v17, vcc
	global_load_dword v140, v[18:19], off offset:6
	global_load_dword v141, v[16:17], off
	global_load_ushort v142, v[16:17], off offset:4
	s_and_b64 vcc, exec, s[12:13]
	s_waitcnt vmcnt(2)
	v_and_b32_e32 v145, 0xf0f0f0f, v140
	v_lshrrev_b32_e32 v140, 4, v140
	s_waitcnt vmcnt(0)
	v_perm_b32 v142, v141, v142, s44
	v_ashrrev_i32_e32 v143, v24, v142
	v_lshlrev_b32_e32 v144, 4, v143
	v_lshlrev_b32_e32 v146, 11, v143
	;; [unrolled: 1-line block ×4, first 2 shown]
	v_and_b32_e32 v147, 0x100000, v147
	v_and_b32_e32 v143, 0x10000000, v143
	;; [unrolled: 1-line block ×4, first 2 shown]
	v_or3_b32 v143, v143, v145, v147
	v_or3_b32 v143, v143, v144, v146
	v_mov_b32_e32 v144, 0
	v_dot4c_i32_i8_e32 v144, v143, v26
	v_ashrrev_i32_e32 v142, v115, v142
	v_lshlrev_b32_e32 v145, 11, v142
	v_lshlrev_b32_e32 v146, 18, v142
	v_cvt_f32_i32_e32 v143, v144
	v_lshlrev_b32_e32 v144, 4, v142
	v_lshlrev_b32_e32 v142, 25, v142
	v_and_b32_e32 v140, 0xf0f0f0f, v140
	v_and_b32_e32 v146, 0x100000, v146
	;; [unrolled: 1-line block ×5, first 2 shown]
	v_or3_b32 v140, v142, v140, v146
	v_or3_b32 v140, v140, v144, v145
	v_mov_b32_e32 v142, 0
	v_dot4c_i32_i8_e32 v142, v140, v27
	v_fma_f32 v143, v0, v143, -v113
	v_fma_mix_f32 v143, v143, v141, 0 op_sel_hi:[0,1,0]
	s_nop 0
	v_cvt_f32_i32_e32 v140, v142
	v_fma_f32 v140, v0, v140, -v113
	v_fma_mix_f32 v140, v140, v141, v143 op_sel_hi:[0,1,0]
	global_load_dword v141, v[18:19], off offset:28
	global_load_dword v142, v[16:17], off offset:22
	global_load_ushort v143, v[16:17], off offset:26
	s_waitcnt vmcnt(2)
	v_and_b32_e32 v146, 0xf0f0f0f, v141
	v_lshrrev_b32_e32 v141, 4, v141
	s_waitcnt vmcnt(0)
	v_perm_b32 v143, v142, v143, s44
	v_ashrrev_i32_e32 v144, v24, v143
	v_lshlrev_b32_e32 v145, 4, v144
	v_lshlrev_b32_e32 v147, 11, v144
	v_lshlrev_b32_e32 v148, 18, v144
	v_lshlrev_b32_e32 v144, 25, v144
	v_and_b32_e32 v148, 0x100000, v148
	v_and_b32_e32 v144, 0x10000000, v144
	v_and_b32_e32 v145, 16, v145
	v_and_b32_e32 v147, 0x1000, v147
	v_or3_b32 v144, v144, v146, v148
	v_or3_b32 v144, v144, v145, v147
	v_mov_b32_e32 v145, 0
	v_dot4c_i32_i8_e32 v145, v144, v28
	v_ashrrev_i32_e32 v143, v115, v143
	v_lshlrev_b32_e32 v146, 18, v143
	v_and_b32_e32 v141, 0xf0f0f0f, v141
	v_cvt_f32_i32_e32 v144, v145
	v_lshlrev_b32_e32 v145, 11, v143
	v_and_b32_e32 v146, 0x100000, v146
	v_and_b32_e32 v145, 0x1000, v145
	v_fma_f32 v144, v2, v144, -v117
	v_fma_mix_f32 v140, v144, v142, v140 op_sel_hi:[0,1,0]
	v_lshlrev_b32_e32 v144, 4, v143
	v_lshlrev_b32_e32 v143, 25, v143
	v_and_b32_e32 v143, 0x10000000, v143
	v_and_b32_e32 v144, 16, v144
	v_or3_b32 v141, v143, v141, v146
	v_or3_b32 v141, v141, v144, v145
	v_mov_b32_e32 v143, 0
	v_dot4c_i32_i8_e32 v143, v141, v29
	s_nop 2
	v_cvt_f32_i32_e32 v141, v143
	v_fma_f32 v141, v2, v141, -v117
	v_fma_mix_f32 v140, v141, v142, v140 op_sel_hi:[0,1,0]
	global_load_dword v141, v[18:19], off offset:50
	global_load_dword v142, v[16:17], off offset:44
	global_load_ushort v143, v[16:17], off offset:48
	s_waitcnt vmcnt(2)
	v_and_b32_e32 v146, 0xf0f0f0f, v141
	v_lshrrev_b32_e32 v141, 4, v141
	s_waitcnt vmcnt(0)
	v_perm_b32 v143, v142, v143, s44
	v_ashrrev_i32_e32 v144, v24, v143
	v_lshlrev_b32_e32 v145, 4, v144
	v_lshlrev_b32_e32 v147, 11, v144
	v_lshlrev_b32_e32 v148, 18, v144
	v_lshlrev_b32_e32 v144, 25, v144
	v_and_b32_e32 v148, 0x100000, v148
	v_and_b32_e32 v144, 0x10000000, v144
	v_and_b32_e32 v145, 16, v145
	v_and_b32_e32 v147, 0x1000, v147
	v_or3_b32 v144, v144, v146, v148
	v_or3_b32 v144, v144, v145, v147
	v_mov_b32_e32 v145, 0
	v_dot4c_i32_i8_e32 v145, v144, v30
	v_ashrrev_i32_e32 v143, v115, v143
	v_lshlrev_b32_e32 v146, 18, v143
	v_and_b32_e32 v141, 0xf0f0f0f, v141
	v_cvt_f32_i32_e32 v144, v145
	v_lshlrev_b32_e32 v145, 11, v143
	v_and_b32_e32 v146, 0x100000, v146
	v_and_b32_e32 v145, 0x1000, v145
	v_fma_f32 v144, v4, v144, -v119
	v_fma_mix_f32 v140, v144, v142, v140 op_sel_hi:[0,1,0]
	v_lshlrev_b32_e32 v144, 4, v143
	v_lshlrev_b32_e32 v143, 25, v143
	v_and_b32_e32 v143, 0x10000000, v143
	v_and_b32_e32 v144, 16, v144
	v_or3_b32 v141, v143, v141, v146
	v_or3_b32 v141, v141, v144, v145
	v_mov_b32_e32 v143, 0
	v_dot4c_i32_i8_e32 v143, v141, v31
	;; [unrolled: 42-line block ×5, first 2 shown]
	s_nop 2
	v_cvt_f32_i32_e32 v141, v143
	v_fma_f32 v141, v10, v141, -v124
	v_fma_mix_f32 v140, v141, v142, v140 op_sel_hi:[0,1,0]
	global_load_dword v141, v[18:19], off offset:138
	global_load_dword v142, v[16:17], off offset:132
	global_load_ushort v143, v[16:17], off offset:136
	s_nop 0
	global_load_dword v18, v[18:19], off offset:160
	s_nop 0
	global_load_dword v19, v[16:17], off offset:154
	s_nop 0
	global_load_ushort v16, v[16:17], off offset:158
	s_waitcnt vmcnt(5)
	v_and_b32_e32 v146, 0xf0f0f0f, v141
	v_lshrrev_b32_e32 v141, 4, v141
	s_waitcnt vmcnt(3)
	v_perm_b32 v143, v142, v143, s44
	v_ashrrev_i32_e32 v144, v24, v143
	v_lshlrev_b32_e32 v145, 4, v144
	v_lshlrev_b32_e32 v147, 11, v144
	;; [unrolled: 1-line block ×4, first 2 shown]
	v_and_b32_e32 v148, 0x100000, v148
	v_and_b32_e32 v144, 0x10000000, v144
	;; [unrolled: 1-line block ×4, first 2 shown]
	v_or3_b32 v144, v144, v146, v148
	v_or3_b32 v144, v144, v145, v147
	v_mov_b32_e32 v145, 0
	v_dot4c_i32_i8_e32 v145, v144, v38
	v_ashrrev_i32_e32 v143, v115, v143
	v_lshlrev_b32_e32 v146, 18, v143
	v_and_b32_e32 v141, 0xf0f0f0f, v141
	v_cvt_f32_i32_e32 v144, v145
	v_lshlrev_b32_e32 v145, 11, v143
	v_and_b32_e32 v146, 0x100000, v146
	v_and_b32_e32 v145, 0x1000, v145
	v_fma_f32 v144, v12, v144, -v125
	v_fma_mix_f32 v140, v144, v142, v140 op_sel_hi:[0,1,0]
	v_lshlrev_b32_e32 v144, 4, v143
	v_lshlrev_b32_e32 v143, 25, v143
	v_and_b32_e32 v143, 0x10000000, v143
	v_and_b32_e32 v144, 16, v144
	v_or3_b32 v141, v143, v141, v146
	v_or3_b32 v141, v141, v144, v145
	v_mov_b32_e32 v143, 0
	v_dot4c_i32_i8_e32 v143, v141, v39
	s_waitcnt vmcnt(0)
	v_perm_b32 v16, v19, v16, s44
	v_ashrrev_i32_e32 v17, v24, v16
	v_lshlrev_b32_e32 v144, 18, v17
	v_cvt_f32_i32_e32 v141, v143
	v_lshlrev_b32_e32 v143, 11, v17
	v_and_b32_e32 v144, 0x100000, v144
	v_and_b32_e32 v143, 0x1000, v143
	v_fma_f32 v141, v12, v141, -v125
	v_fma_mix_f32 v140, v141, v142, v140 op_sel_hi:[0,1,0]
	v_lshlrev_b32_e32 v141, 4, v17
	v_lshlrev_b32_e32 v17, 25, v17
	v_and_b32_e32 v142, 0xf0f0f0f, v18
	v_and_b32_e32 v17, 0x10000000, v17
	;; [unrolled: 1-line block ×3, first 2 shown]
	v_or3_b32 v17, v17, v142, v144
	v_or3_b32 v17, v17, v141, v143
	v_mov_b32_e32 v141, 0
	v_dot4c_i32_i8_e32 v141, v17, v40
	v_ashrrev_i32_e32 v16, v115, v16
	v_lshrrev_b32_e32 v18, 4, v18
	v_lshlrev_b32_e32 v142, 18, v16
	v_cvt_f32_i32_e32 v17, v141
	v_lshlrev_b32_e32 v141, 11, v16
	v_and_b32_e32 v18, 0xf0f0f0f, v18
	v_and_b32_e32 v142, 0x100000, v142
	v_fma_f32 v17, v14, v17, -v126
	v_fma_mix_f32 v17, v17, v19, v140 op_sel_hi:[0,1,0]
	v_lshlrev_b32_e32 v140, 4, v16
	v_lshlrev_b32_e32 v16, 25, v16
	v_and_b32_e32 v16, 0x10000000, v16
	v_and_b32_e32 v140, 16, v140
	;; [unrolled: 1-line block ×3, first 2 shown]
	v_or3_b32 v16, v16, v18, v142
	v_or3_b32 v16, v16, v140, v141
	v_mov_b32_e32 v18, 0
	v_dot4c_i32_i8_e32 v18, v16, v41
	s_nop 2
	v_cvt_f32_i32_e32 v16, v18
	v_fma_f32 v16, v14, v16, -v126
	v_fma_mix_f32 v16, v16, v19, v17 op_sel_hi:[0,1,0]
	ds_bpermute_b32 v17, v127, v16
	s_waitcnt lgkmcnt(0)
	v_add_f32_e32 v16, v16, v17
	ds_bpermute_b32 v17, v128, v16
	s_waitcnt lgkmcnt(0)
	v_add_f32_e32 v16, v16, v17
	s_cbranch_vccnz .LBB23_23
; %bb.22:                               ;   in Loop: Header=BB23_15 Depth=1
	global_load_ushort v17, v22, s[24:25] offset:6
	s_waitcnt vmcnt(0)
	v_fma_mix_f32 v16, v103, v17, v16 op_sel_hi:[0,1,0]
.LBB23_23:                              ;   in Loop: Header=BB23_15 Depth=1
	v_add_f32_e32 v17, 0x40051340, v21
	v_add_f32_e32 v18, 0x40051340, v23
	v_max3_f32 v17, v20, v17, v18
	v_add_f32_e32 v18, 0x40051340, v139
	v_add_f32_e32 v19, 0x40051340, v16
	v_max3_f32 v17, v17, v18, v19
	v_mov_b32_e32 v140, s27
	v_add_co_u32_e32 v18, vcc, s19, v48
	v_addc_co_u32_e32 v19, vcc, v140, v9, vcc
	v_mad_u64_u32 v[142:143], s[12:13], v58, 34, v[18:19]
	v_add_co_u32_e32 v144, vcc, v142, v60
	v_addc_co_u32_e32 v145, vcc, 0, v143, vcc
	v_mad_u64_u32 v[18:19], s[12:13], v50, 34, v[18:19]
	global_load_dword v22, v[144:145], off offset:2
	global_load_ushort v150, v[18:19], off
	v_add_co_u32_e32 v144, vcc, v18, v52
	v_addc_co_u32_e32 v145, vcc, 0, v19, vcc
	v_add_co_u32_e32 v146, vcc, s19, v62
	v_addc_co_u32_e32 v147, vcc, v140, v11, vcc
	v_mad_u64_u32 v[148:149], s[12:13], v50, 34, v[146:147]
	v_add_co_u32_e32 v18, vcc, v148, v52
	v_addc_co_u32_e32 v19, vcc, 0, v149, vcc
	v_mad_u64_u32 v[146:147], s[12:13], v58, 34, v[146:147]
	global_load_dword v151, v[18:19], off offset:2
	v_add_co_u32_e32 v18, vcc, v146, v60
	v_addc_co_u32_e32 v19, vcc, 0, v147, vcc
	global_load_dword v152, v[18:19], off offset:2
	s_nop 0
	global_load_dword v144, v[144:145], off offset:2
	s_nop 0
	global_load_ushort v18, v[142:143], off
	v_cndmask_b32_e64 v19, v134, v21, s[14:15]
	ds_bpermute_b32 v21, v129, v17
	v_cndmask_b32_e64 v19, v19, v23, s[8:9]
	v_cndmask_b32_e64 v19, v19, v139, s[10:11]
	;; [unrolled: 1-line block ×3, first 2 shown]
	s_add_i32 s18, s36, s18
	s_waitcnt lgkmcnt(0)
	v_max_f32_e32 v21, v21, v21
	v_max_f32_e32 v17, v17, v21
	ds_bpermute_b32 v21, v130, v17
	s_add_u32 s35, s35, s42
	s_addc_u32 s41, s41, 0
	s_waitcnt lgkmcnt(0)
	v_max_f32_e32 v21, v21, v21
	v_max_f32_e32 v17, v17, v21
	ds_bpermute_b32 v21, v131, v17
	s_waitcnt lgkmcnt(0)
	v_max_f32_e32 v21, v21, v21
	v_max_f32_e32 v139, v17, v21
	v_sub_f32_e32 v17, v20, v139
	v_mul_f32_e32 v19, 0x3fb8aa3b, v17
	v_fma_f32 v20, v17, s45, -v19
	v_rndne_f32_e32 v21, v19
	v_fmac_f32_e32 v20, 0x32a5705f, v17
	v_sub_f32_e32 v19, v19, v21
	v_add_f32_e32 v19, v19, v20
	v_sub_f32_e32 v16, v16, v139
	v_mul_f32_e32 v20, 0x3fb8aa3b, v16
	v_cvt_i32_f32_e32 v21, v21
	v_exp_f32_e32 v19, v19
	v_fma_f32 v23, v16, s45, -v20
	v_rndne_f32_e32 v134, v20
	v_fmac_f32_e32 v23, 0x32a5705f, v16
	v_sub_f32_e32 v20, v20, v134
	v_add_f32_e32 v20, v20, v23
	v_ldexp_f32 v19, v19, v21
	v_cvt_i32_f32_e32 v21, v134
	v_exp_f32_e32 v20, v20
	v_cmp_ngt_f32_e32 vcc, s46, v16
	v_ldexp_f32 v20, v20, v21
	v_cndmask_b32_e32 v20, 0, v20, vcc
	v_cmp_nlt_f32_e32 vcc, s47, v16
	v_cndmask_b32_e32 v134, v133, v20, vcc
	v_cvt_f16_f32_e32 v16, v134
	v_cmp_ngt_f32_e32 vcc, s46, v17
	v_cndmask_b32_e32 v19, 0, v19, vcc
	v_cmp_nlt_f32_e32 vcc, s47, v17
	v_cndmask_b32_e32 v141, v133, v19, vcc
	ds_write_b16 v107, v16
	v_cvt_f16_f32_e32 v145, v141
	v_fma_f32 v111, v111, v141, v134
	s_waitcnt vmcnt(5)
	v_lshrrev_b32_e32 v16, 16, v22
	v_cvt_f16_i16_sdwa v17, sext(v22) dst_sel:DWORD dst_unused:UNUSED_PAD src0_sel:BYTE_0
	v_cvt_f16_i16_sdwa v19, sext(v22) dst_sel:DWORD dst_unused:UNUSED_PAD src0_sel:BYTE_1
	v_pack_b32_f16 v17, v17, v19
	v_cvt_f16_i16_sdwa v19, sext(v16) dst_sel:DWORD dst_unused:UNUSED_PAD src0_sel:BYTE_0
	v_cvt_f16_i16_sdwa v16, sext(v16) dst_sel:DWORD dst_unused:UNUSED_PAD src0_sel:BYTE_1
	v_pack_b32_f16 v16, v19, v16
	s_waitcnt vmcnt(0)
	v_pk_mul_f16 v142, v17, v18 op_sel_hi:[1,0]
	v_pk_mul_f16 v143, v18, v16 op_sel_hi:[0,1]
	ds_read_b128 v[20:23], v132
	ds_read_b128 v[16:19], v132 offset:16
	global_load_ushort v154, v[148:149], off
	global_load_ushort v155, v[146:147], off
	s_waitcnt lgkmcnt(1)
	v_pk_mul_f16 v142, v20, v142 op_sel_hi:[0,1]
	v_pk_fma_f16 v135, v145, v135, v142 op_sel_hi:[0,1,1]
	v_pk_mul_f16 v142, v20, v143 op_sel_hi:[0,1]
	v_pk_fma_f16 v138, v145, v138, v142 op_sel_hi:[0,1,1]
	v_cvt_f16_i16_sdwa v142, sext(v144) dst_sel:DWORD dst_unused:UNUSED_PAD src0_sel:BYTE_0
	v_cvt_f16_i16_sdwa v143, sext(v144) dst_sel:DWORD dst_unused:UNUSED_PAD src0_sel:BYTE_1
	v_pack_b32_f16 v142, v142, v143
	v_lshrrev_b32_e32 v143, 16, v144
	v_cvt_f16_i16_sdwa v144, sext(v143) dst_sel:DWORD dst_unused:UNUSED_PAD src0_sel:BYTE_0
	v_cvt_f16_i16_sdwa v143, sext(v143) dst_sel:DWORD dst_unused:UNUSED_PAD src0_sel:BYTE_1
	v_pack_b32_f16 v143, v144, v143
	v_pk_mul_f16 v142, v142, v150 op_sel_hi:[1,0]
	v_pk_mul_f16 v143, v150, v143 op_sel_hi:[0,1]
	;; [unrolled: 1-line block ×3, first 2 shown]
	v_pk_fma_f16 v150, v145, v137, v142 op_sel_hi:[0,1,1]
	v_pk_mul_f16 v137, v20, v143 op_sel_hi:[0,1]
	v_pk_fma_f16 v153, v145, v136, v137 op_sel_hi:[0,1,1]
	v_add_co_u32_e32 v136, vcc, s19, v64
	v_addc_co_u32_e32 v137, vcc, v140, v13, vcc
	v_mad_u64_u32 v[142:143], s[12:13], v58, 34, v[136:137]
	v_add_co_u32_e32 v144, vcc, v142, v60
	v_addc_co_u32_e32 v145, vcc, 0, v143, vcc
	v_mad_u64_u32 v[136:137], s[12:13], v50, 34, v[136:137]
	global_load_dword v156, v[144:145], off offset:2
	global_load_ushort v157, v[136:137], off
	v_add_co_u32_e32 v144, vcc, v136, v52
	v_addc_co_u32_e32 v145, vcc, 0, v137, vcc
	v_add_co_u32_e32 v136, vcc, s19, v66
	v_addc_co_u32_e32 v137, vcc, v140, v15, vcc
	v_mad_u64_u32 v[146:147], s[12:13], v50, 34, v[136:137]
	v_add_co_u32_e32 v148, vcc, v146, v52
	v_addc_co_u32_e32 v149, vcc, 0, v147, vcc
	v_mad_u64_u32 v[136:137], s[12:13], v58, 34, v[136:137]
	global_load_dword v158, v[148:149], off offset:2
	v_add_co_u32_e32 v148, vcc, v136, v60
	v_addc_co_u32_e32 v149, vcc, 0, v137, vcc
	global_load_dword v159, v[148:149], off offset:2
	global_load_dword v160, v[144:145], off offset:2
	s_nop 0
	global_load_ushort v142, v[142:143], off
	s_nop 0
	global_load_ushort v161, v[146:147], off
	global_load_ushort v162, v[136:137], off
	v_cvt_f16_i16_sdwa v136, sext(v152) dst_sel:DWORD dst_unused:UNUSED_PAD src0_sel:BYTE_0
	v_cvt_f16_i16_sdwa v137, sext(v152) dst_sel:DWORD dst_unused:UNUSED_PAD src0_sel:BYTE_1
	v_pack_b32_f16 v136, v136, v137
	v_lshrrev_b32_e32 v137, 16, v152
	v_cvt_f16_i16_sdwa v143, sext(v137) dst_sel:DWORD dst_unused:UNUSED_PAD src0_sel:BYTE_0
	v_cvt_f16_i16_sdwa v137, sext(v137) dst_sel:DWORD dst_unused:UNUSED_PAD src0_sel:BYTE_1
	v_pack_b32_f16 v137, v143, v137
	s_waitcnt vmcnt(8)
	v_pk_mul_f16 v136, v136, v155 op_sel_hi:[1,0]
	v_pk_mul_f16 v137, v155, v137 op_sel_hi:[0,1]
	v_pk_fma_f16 v135, v20, v136, v135 op_sel:[1,0,0]
	v_pk_fma_f16 v136, v20, v137, v138 op_sel:[1,0,0]
	v_cvt_f16_i16_sdwa v137, sext(v151) dst_sel:DWORD dst_unused:UNUSED_PAD src0_sel:BYTE_0
	v_cvt_f16_i16_sdwa v138, sext(v151) dst_sel:DWORD dst_unused:UNUSED_PAD src0_sel:BYTE_1
	v_pack_b32_f16 v137, v137, v138
	v_lshrrev_b32_e32 v138, 16, v151
	v_cvt_f16_i16_sdwa v143, sext(v138) dst_sel:DWORD dst_unused:UNUSED_PAD src0_sel:BYTE_0
	v_cvt_f16_i16_sdwa v138, sext(v138) dst_sel:DWORD dst_unused:UNUSED_PAD src0_sel:BYTE_1
	v_pack_b32_f16 v138, v143, v138
	v_pk_mul_f16 v137, v137, v154 op_sel_hi:[1,0]
	v_pk_mul_f16 v138, v154, v138 op_sel_hi:[0,1]
	v_pk_fma_f16 v150, v20, v137, v150 op_sel:[1,0,0]
	v_pk_fma_f16 v20, v20, v138, v153 op_sel:[1,0,0]
	s_waitcnt vmcnt(7)
	v_cvt_f16_i16_sdwa v137, sext(v156) dst_sel:DWORD dst_unused:UNUSED_PAD src0_sel:BYTE_0
	v_cvt_f16_i16_sdwa v138, sext(v156) dst_sel:DWORD dst_unused:UNUSED_PAD src0_sel:BYTE_1
	v_pack_b32_f16 v137, v137, v138
	v_lshrrev_b32_e32 v138, 16, v156
	v_cvt_f16_i16_sdwa v143, sext(v138) dst_sel:DWORD dst_unused:UNUSED_PAD src0_sel:BYTE_0
	v_cvt_f16_i16_sdwa v138, sext(v138) dst_sel:DWORD dst_unused:UNUSED_PAD src0_sel:BYTE_1
	v_pack_b32_f16 v138, v143, v138
	s_waitcnt vmcnt(2)
	v_pk_mul_f16 v138, v142, v138 op_sel_hi:[0,1]
	v_pk_mul_f16 v137, v137, v142 op_sel_hi:[1,0]
	v_pk_fma_f16 v138, v21, v138, v136 op_sel_hi:[0,1,1]
	v_add_co_u32_e32 v136, vcc, s19, v68
	v_pk_fma_f16 v135, v21, v137, v135 op_sel_hi:[0,1,1]
	v_addc_co_u32_e32 v137, vcc, v140, v25, vcc
	v_mad_u64_u32 v[142:143], s[12:13], v58, 34, v[136:137]
	v_add_co_u32_e32 v144, vcc, v142, v60
	v_addc_co_u32_e32 v145, vcc, 0, v143, vcc
	global_load_dword v151, v[144:145], off offset:2
	v_add_co_u32_e32 v144, vcc, s19, v70
	v_addc_co_u32_e32 v145, vcc, v140, v43, vcc
	v_mad_u64_u32 v[146:147], s[12:13], v50, 34, v[144:145]
	v_add_co_u32_e32 v148, vcc, v146, v52
	v_addc_co_u32_e32 v149, vcc, 0, v147, vcc
	v_mad_u64_u32 v[144:145], s[12:13], v58, 34, v[144:145]
	global_load_dword v152, v[148:149], off offset:2
	global_load_ushort v153, v[146:147], off
	v_add_co_u32_e32 v146, vcc, v144, v60
	v_addc_co_u32_e32 v147, vcc, 0, v145, vcc
	v_mad_u64_u32 v[136:137], s[12:13], v50, 34, v[136:137]
	global_load_dword v154, v[146:147], off offset:2
	global_load_ushort v155, v[144:145], off
	v_add_co_u32_e32 v144, vcc, v136, v52
	v_addc_co_u32_e32 v145, vcc, 0, v137, vcc
	global_load_dword v156, v[144:145], off offset:2
	global_load_ushort v163, v[136:137], off
	global_load_ushort v164, v[142:143], off
	v_cvt_f16_i16_sdwa v136, sext(v160) dst_sel:DWORD dst_unused:UNUSED_PAD src0_sel:BYTE_0
	v_cvt_f16_i16_sdwa v137, sext(v160) dst_sel:DWORD dst_unused:UNUSED_PAD src0_sel:BYTE_1
	v_pack_b32_f16 v165, v136, v137
	v_add_co_u32_e32 v136, vcc, s19, v72
	v_addc_co_u32_e32 v137, vcc, v140, v45, vcc
	v_mad_u64_u32 v[142:143], s[12:13], v58, 34, v[136:137]
	v_add_co_u32_e32 v144, vcc, v142, v60
	v_addc_co_u32_e32 v145, vcc, 0, v143, vcc
	global_load_dword v166, v[144:145], off offset:2
	v_add_co_u32_e32 v144, vcc, s19, v74
	v_addc_co_u32_e32 v145, vcc, v140, v47, vcc
	v_mad_u64_u32 v[146:147], s[12:13], v50, 34, v[144:145]
	v_add_co_u32_e32 v148, vcc, v146, v52
	v_addc_co_u32_e32 v149, vcc, 0, v147, vcc
	v_mad_u64_u32 v[144:145], s[12:13], v58, 34, v[144:145]
	global_load_dword v148, v[148:149], off offset:2
	s_nop 0
	global_load_ushort v149, v[146:147], off
	v_add_co_u32_e32 v146, vcc, v144, v60
	v_addc_co_u32_e32 v147, vcc, 0, v145, vcc
	v_mad_u64_u32 v[136:137], s[12:13], v50, 34, v[136:137]
	global_load_dword v146, v[146:147], off offset:2
	s_nop 0
	global_load_ushort v147, v[144:145], off
	v_add_co_u32_e32 v144, vcc, v136, v52
	v_addc_co_u32_e32 v145, vcc, 0, v137, vcc
	global_load_dword v144, v[144:145], off offset:2
	s_nop 0
	global_load_ushort v136, v[136:137], off
	s_nop 0
	global_load_ushort v137, v[142:143], off
	v_lshrrev_b32_e32 v142, 16, v160
	v_cvt_f16_i16_sdwa v143, sext(v142) dst_sel:DWORD dst_unused:UNUSED_PAD src0_sel:BYTE_0
	v_cvt_f16_i16_sdwa v142, sext(v142) dst_sel:DWORD dst_unused:UNUSED_PAD src0_sel:BYTE_1
	v_pack_b32_f16 v142, v143, v142
	v_pk_mul_f16 v142, v157, v142 op_sel_hi:[0,1]
	v_pk_fma_f16 v20, v21, v142, v20 op_sel_hi:[0,1,1]
	v_cvt_f16_i16_sdwa v142, sext(v159) dst_sel:DWORD dst_unused:UNUSED_PAD src0_sel:BYTE_0
	v_cvt_f16_i16_sdwa v145, sext(v159) dst_sel:DWORD dst_unused:UNUSED_PAD src0_sel:BYTE_1
	v_pk_mul_f16 v143, v165, v157 op_sel_hi:[1,0]
	v_pack_b32_f16 v142, v142, v145
	v_lshrrev_b32_e32 v145, 16, v159
	v_pk_fma_f16 v143, v21, v143, v150 op_sel_hi:[0,1,1]
	v_cvt_f16_i16_sdwa v150, sext(v145) dst_sel:DWORD dst_unused:UNUSED_PAD src0_sel:BYTE_0
	v_cvt_f16_i16_sdwa v145, sext(v145) dst_sel:DWORD dst_unused:UNUSED_PAD src0_sel:BYTE_1
	v_pack_b32_f16 v145, v150, v145
	s_waitcnt vmcnt(16)
	v_pk_mul_f16 v142, v142, v162 op_sel_hi:[1,0]
	v_pk_mul_f16 v145, v162, v145 op_sel_hi:[0,1]
	v_pk_fma_f16 v135, v21, v142, v135 op_sel:[1,0,0]
	v_pk_fma_f16 v138, v21, v145, v138 op_sel:[1,0,0]
	v_cvt_f16_i16_sdwa v142, sext(v158) dst_sel:DWORD dst_unused:UNUSED_PAD src0_sel:BYTE_0
	v_cvt_f16_i16_sdwa v145, sext(v158) dst_sel:DWORD dst_unused:UNUSED_PAD src0_sel:BYTE_1
	v_pack_b32_f16 v142, v142, v145
	v_lshrrev_b32_e32 v145, 16, v158
	v_cvt_f16_i16_sdwa v150, sext(v145) dst_sel:DWORD dst_unused:UNUSED_PAD src0_sel:BYTE_0
	v_cvt_f16_i16_sdwa v145, sext(v145) dst_sel:DWORD dst_unused:UNUSED_PAD src0_sel:BYTE_1
	v_pack_b32_f16 v145, v150, v145
	v_pk_mul_f16 v142, v142, v161 op_sel_hi:[1,0]
	v_pk_mul_f16 v145, v161, v145 op_sel_hi:[0,1]
	v_pk_fma_f16 v142, v21, v142, v143 op_sel:[1,0,0]
	v_pk_fma_f16 v20, v21, v145, v20 op_sel:[1,0,0]
	s_waitcnt vmcnt(15)
	v_cvt_f16_i16_sdwa v21, sext(v151) dst_sel:DWORD dst_unused:UNUSED_PAD src0_sel:BYTE_0
	v_cvt_f16_i16_sdwa v143, sext(v151) dst_sel:DWORD dst_unused:UNUSED_PAD src0_sel:BYTE_1
	v_pack_b32_f16 v21, v21, v143
	v_lshrrev_b32_e32 v143, 16, v151
	v_cvt_f16_i16_sdwa v145, sext(v143) dst_sel:DWORD dst_unused:UNUSED_PAD src0_sel:BYTE_0
	v_cvt_f16_i16_sdwa v143, sext(v143) dst_sel:DWORD dst_unused:UNUSED_PAD src0_sel:BYTE_1
	v_pack_b32_f16 v143, v145, v143
	s_waitcnt vmcnt(8)
	v_pk_mul_f16 v21, v21, v164 op_sel_hi:[1,0]
	v_pk_mul_f16 v143, v164, v143 op_sel_hi:[0,1]
	v_pk_fma_f16 v21, v22, v21, v135 op_sel_hi:[0,1,1]
	v_pk_fma_f16 v135, v22, v143, v138 op_sel_hi:[0,1,1]
	v_cvt_f16_i16_sdwa v138, sext(v156) dst_sel:DWORD dst_unused:UNUSED_PAD src0_sel:BYTE_0
	v_cvt_f16_i16_sdwa v143, sext(v156) dst_sel:DWORD dst_unused:UNUSED_PAD src0_sel:BYTE_1
	v_pack_b32_f16 v138, v138, v143
	v_lshrrev_b32_e32 v143, 16, v156
	v_cvt_f16_i16_sdwa v145, sext(v143) dst_sel:DWORD dst_unused:UNUSED_PAD src0_sel:BYTE_0
	v_cvt_f16_i16_sdwa v143, sext(v143) dst_sel:DWORD dst_unused:UNUSED_PAD src0_sel:BYTE_1
	v_pack_b32_f16 v143, v145, v143
	v_pk_mul_f16 v138, v138, v163 op_sel_hi:[1,0]
	v_pk_mul_f16 v143, v163, v143 op_sel_hi:[0,1]
	v_pk_fma_f16 v138, v22, v138, v142 op_sel_hi:[0,1,1]
	v_pk_fma_f16 v20, v22, v143, v20 op_sel_hi:[0,1,1]
	v_cvt_f16_i16_sdwa v142, sext(v154) dst_sel:DWORD dst_unused:UNUSED_PAD src0_sel:BYTE_0
	v_cvt_f16_i16_sdwa v143, sext(v154) dst_sel:DWORD dst_unused:UNUSED_PAD src0_sel:BYTE_1
	v_pack_b32_f16 v142, v142, v143
	v_lshrrev_b32_e32 v143, 16, v154
	v_cvt_f16_i16_sdwa v145, sext(v143) dst_sel:DWORD dst_unused:UNUSED_PAD src0_sel:BYTE_0
	v_cvt_f16_i16_sdwa v143, sext(v143) dst_sel:DWORD dst_unused:UNUSED_PAD src0_sel:BYTE_1
	v_pack_b32_f16 v143, v145, v143
	v_pk_mul_f16 v142, v142, v155 op_sel_hi:[1,0]
	v_pk_mul_f16 v143, v155, v143 op_sel_hi:[0,1]
	v_pk_fma_f16 v21, v22, v142, v21 op_sel:[1,0,0]
	v_pk_fma_f16 v135, v22, v143, v135 op_sel:[1,0,0]
	v_cvt_f16_i16_sdwa v142, sext(v152) dst_sel:DWORD dst_unused:UNUSED_PAD src0_sel:BYTE_0
	v_cvt_f16_i16_sdwa v143, sext(v152) dst_sel:DWORD dst_unused:UNUSED_PAD src0_sel:BYTE_1
	v_pack_b32_f16 v142, v142, v143
	v_lshrrev_b32_e32 v143, 16, v152
	v_cvt_f16_i16_sdwa v145, sext(v143) dst_sel:DWORD dst_unused:UNUSED_PAD src0_sel:BYTE_0
	v_cvt_f16_i16_sdwa v143, sext(v143) dst_sel:DWORD dst_unused:UNUSED_PAD src0_sel:BYTE_1
	v_pack_b32_f16 v143, v145, v143
	v_pk_mul_f16 v142, v142, v153 op_sel_hi:[1,0]
	v_pk_mul_f16 v143, v153, v143 op_sel_hi:[0,1]
	v_pk_fma_f16 v138, v22, v142, v138 op_sel:[1,0,0]
	v_pk_fma_f16 v20, v22, v143, v20 op_sel:[1,0,0]
	s_waitcnt vmcnt(7)
	v_cvt_f16_i16_sdwa v22, sext(v166) dst_sel:DWORD dst_unused:UNUSED_PAD src0_sel:BYTE_0
	v_cvt_f16_i16_sdwa v142, sext(v166) dst_sel:DWORD dst_unused:UNUSED_PAD src0_sel:BYTE_1
	v_pack_b32_f16 v22, v22, v142
	v_lshrrev_b32_e32 v142, 16, v166
	v_cvt_f16_i16_sdwa v143, sext(v142) dst_sel:DWORD dst_unused:UNUSED_PAD src0_sel:BYTE_0
	v_cvt_f16_i16_sdwa v142, sext(v142) dst_sel:DWORD dst_unused:UNUSED_PAD src0_sel:BYTE_1
	v_pack_b32_f16 v142, v143, v142
	s_waitcnt vmcnt(0)
	v_pk_mul_f16 v22, v22, v137 op_sel_hi:[1,0]
	v_pk_mul_f16 v137, v137, v142 op_sel_hi:[0,1]
	v_pk_fma_f16 v21, v23, v22, v21 op_sel_hi:[0,1,1]
	v_pk_fma_f16 v22, v23, v137, v135 op_sel_hi:[0,1,1]
	v_cvt_f16_i16_sdwa v135, sext(v144) dst_sel:DWORD dst_unused:UNUSED_PAD src0_sel:BYTE_0
	v_cvt_f16_i16_sdwa v137, sext(v144) dst_sel:DWORD dst_unused:UNUSED_PAD src0_sel:BYTE_1
	v_pack_b32_f16 v135, v135, v137
	v_lshrrev_b32_e32 v137, 16, v144
	v_cvt_f16_i16_sdwa v142, sext(v137) dst_sel:DWORD dst_unused:UNUSED_PAD src0_sel:BYTE_0
	v_cvt_f16_i16_sdwa v137, sext(v137) dst_sel:DWORD dst_unused:UNUSED_PAD src0_sel:BYTE_1
	v_pack_b32_f16 v137, v142, v137
	v_pk_mul_f16 v135, v135, v136 op_sel_hi:[1,0]
	v_pk_mul_f16 v136, v136, v137 op_sel_hi:[0,1]
	v_pk_fma_f16 v20, v23, v136, v20 op_sel_hi:[0,1,1]
	v_cvt_f16_i16_sdwa v136, sext(v146) dst_sel:DWORD dst_unused:UNUSED_PAD src0_sel:BYTE_0
	v_cvt_f16_i16_sdwa v137, sext(v146) dst_sel:DWORD dst_unused:UNUSED_PAD src0_sel:BYTE_1
	v_pack_b32_f16 v136, v136, v137
	v_lshrrev_b32_e32 v137, 16, v146
	v_pk_fma_f16 v135, v23, v135, v138 op_sel_hi:[0,1,1]
	v_cvt_f16_i16_sdwa v138, sext(v137) dst_sel:DWORD dst_unused:UNUSED_PAD src0_sel:BYTE_0
	v_cvt_f16_i16_sdwa v137, sext(v137) dst_sel:DWORD dst_unused:UNUSED_PAD src0_sel:BYTE_1
	v_pack_b32_f16 v137, v138, v137
	v_pk_mul_f16 v136, v136, v147 op_sel_hi:[1,0]
	v_pk_mul_f16 v137, v147, v137 op_sel_hi:[0,1]
	v_pk_fma_f16 v138, v23, v136, v21 op_sel:[1,0,0]
	v_pk_fma_f16 v146, v23, v137, v22 op_sel:[1,0,0]
	v_lshrrev_b32_e32 v21, 16, v148
	v_cvt_f16_i16_sdwa v22, sext(v148) dst_sel:DWORD dst_unused:UNUSED_PAD src0_sel:BYTE_0
	v_cvt_f16_i16_sdwa v136, sext(v148) dst_sel:DWORD dst_unused:UNUSED_PAD src0_sel:BYTE_1
	v_pack_b32_f16 v22, v22, v136
	v_cvt_f16_i16_sdwa v136, sext(v21) dst_sel:DWORD dst_unused:UNUSED_PAD src0_sel:BYTE_0
	v_cvt_f16_i16_sdwa v21, sext(v21) dst_sel:DWORD dst_unused:UNUSED_PAD src0_sel:BYTE_1
	v_pack_b32_f16 v21, v136, v21
	v_pk_mul_f16 v21, v149, v21 op_sel_hi:[0,1]
	v_pk_fma_f16 v147, v23, v21, v20 op_sel:[1,0,0]
	v_add_co_u32_e32 v20, vcc, s19, v76
	v_pk_mul_f16 v22, v22, v149 op_sel_hi:[1,0]
	v_addc_co_u32_e32 v21, vcc, v140, v49, vcc
	v_pk_fma_f16 v135, v23, v22, v135 op_sel:[1,0,0]
	v_mad_u64_u32 v[22:23], s[12:13], v58, 34, v[20:21]
	v_add_co_u32_e32 v136, vcc, v22, v60
	v_addc_co_u32_e32 v137, vcc, 0, v23, vcc
	v_mad_u64_u32 v[20:21], s[12:13], v50, 34, v[20:21]
	global_load_dword v148, v[136:137], off offset:2
	global_load_ushort v149, v[20:21], off
	v_add_co_u32_e32 v136, vcc, s19, v78
	v_addc_co_u32_e32 v137, vcc, v140, v51, vcc
	v_add_co_u32_e32 v142, vcc, v20, v52
	v_addc_co_u32_e32 v143, vcc, 0, v21, vcc
	v_mad_u64_u32 v[20:21], s[12:13], v50, 34, v[136:137]
	v_add_co_u32_e32 v144, vcc, v20, v52
	v_addc_co_u32_e32 v145, vcc, 0, v21, vcc
	v_mad_u64_u32 v[136:137], s[12:13], v58, 34, v[136:137]
	global_load_dword v150, v[144:145], off offset:2
	v_add_co_u32_e32 v144, vcc, v136, v60
	v_addc_co_u32_e32 v145, vcc, 0, v137, vcc
	global_load_dword v151, v[144:145], off offset:2
	global_load_dword v152, v[142:143], off offset:2
	global_load_ushort v153, v[22:23], off
	global_load_ushort v154, v[20:21], off
	;; [unrolled: 1-line block ×3, first 2 shown]
	v_add_co_u32_e32 v20, vcc, s19, v80
	v_addc_co_u32_e32 v21, vcc, v140, v53, vcc
	v_mad_u64_u32 v[22:23], s[12:13], v58, 34, v[20:21]
	v_add_co_u32_e32 v136, vcc, v22, v60
	v_addc_co_u32_e32 v137, vcc, 0, v23, vcc
	v_mad_u64_u32 v[20:21], s[12:13], v50, 34, v[20:21]
	global_load_dword v156, v[136:137], off offset:2
	global_load_ushort v157, v[20:21], off
	v_add_co_u32_e32 v136, vcc, v20, v52
	v_addc_co_u32_e32 v137, vcc, 0, v21, vcc
	v_add_co_u32_e32 v20, vcc, s19, v82
	v_addc_co_u32_e32 v21, vcc, v140, v55, vcc
	v_mad_u64_u32 v[142:143], s[12:13], v50, 34, v[20:21]
	v_add_co_u32_e32 v144, vcc, v142, v52
	v_addc_co_u32_e32 v145, vcc, 0, v143, vcc
	v_mad_u64_u32 v[20:21], s[12:13], v58, 34, v[20:21]
	global_load_dword v158, v[144:145], off offset:2
	v_add_co_u32_e32 v144, vcc, v20, v60
	v_addc_co_u32_e32 v145, vcc, 0, v21, vcc
	global_load_dword v159, v[144:145], off offset:2
	global_load_dword v160, v[136:137], off offset:2
	s_nop 0
	global_load_ushort v22, v[22:23], off
	s_nop 0
	global_load_ushort v161, v[142:143], off
	global_load_ushort v162, v[20:21], off
	s_waitcnt vmcnt(15)
	v_cvt_f16_i16_sdwa v20, sext(v148) dst_sel:DWORD dst_unused:UNUSED_PAD src0_sel:BYTE_0
	v_cvt_f16_i16_sdwa v21, sext(v148) dst_sel:DWORD dst_unused:UNUSED_PAD src0_sel:BYTE_1
	v_pack_b32_f16 v20, v20, v21
	v_lshrrev_b32_e32 v21, 16, v148
	v_cvt_f16_i16_sdwa v23, sext(v21) dst_sel:DWORD dst_unused:UNUSED_PAD src0_sel:BYTE_0
	v_cvt_f16_i16_sdwa v21, sext(v21) dst_sel:DWORD dst_unused:UNUSED_PAD src0_sel:BYTE_1
	v_pack_b32_f16 v21, v23, v21
	s_waitcnt vmcnt(11)
	v_cvt_f16_i16_sdwa v23, sext(v152) dst_sel:DWORD dst_unused:UNUSED_PAD src0_sel:BYTE_0
	v_cvt_f16_i16_sdwa v136, sext(v152) dst_sel:DWORD dst_unused:UNUSED_PAD src0_sel:BYTE_1
	v_pack_b32_f16 v23, v23, v136
	v_lshrrev_b32_e32 v136, 16, v152
	v_cvt_f16_i16_sdwa v137, sext(v136) dst_sel:DWORD dst_unused:UNUSED_PAD src0_sel:BYTE_0
	v_cvt_f16_i16_sdwa v136, sext(v136) dst_sel:DWORD dst_unused:UNUSED_PAD src0_sel:BYTE_1
	v_pack_b32_f16 v136, v137, v136
	v_pk_mul_f16 v23, v23, v149 op_sel_hi:[1,0]
	v_pk_mul_f16 v136, v149, v136 op_sel_hi:[0,1]
	s_waitcnt lgkmcnt(0)
	v_pk_fma_f16 v23, v16, v23, v135 op_sel_hi:[0,1,1]
	v_pk_fma_f16 v135, v16, v136, v147 op_sel_hi:[0,1,1]
	v_cvt_f16_i16_sdwa v136, sext(v151) dst_sel:DWORD dst_unused:UNUSED_PAD src0_sel:BYTE_0
	v_cvt_f16_i16_sdwa v137, sext(v151) dst_sel:DWORD dst_unused:UNUSED_PAD src0_sel:BYTE_1
	s_waitcnt vmcnt(10)
	v_pk_mul_f16 v20, v20, v153 op_sel_hi:[1,0]
	v_pack_b32_f16 v136, v136, v137
	v_lshrrev_b32_e32 v137, 16, v151
	v_pk_fma_f16 v20, v16, v20, v138 op_sel_hi:[0,1,1]
	v_cvt_f16_i16_sdwa v138, sext(v137) dst_sel:DWORD dst_unused:UNUSED_PAD src0_sel:BYTE_0
	v_cvt_f16_i16_sdwa v137, sext(v137) dst_sel:DWORD dst_unused:UNUSED_PAD src0_sel:BYTE_1
	v_pk_mul_f16 v21, v153, v21 op_sel_hi:[0,1]
	v_pack_b32_f16 v137, v138, v137
	v_pk_fma_f16 v21, v16, v21, v146 op_sel_hi:[0,1,1]
	s_waitcnt vmcnt(8)
	v_pk_mul_f16 v136, v136, v155 op_sel_hi:[1,0]
	v_pk_mul_f16 v137, v155, v137 op_sel_hi:[0,1]
	v_pk_fma_f16 v20, v16, v136, v20 op_sel:[1,0,0]
	v_pk_fma_f16 v21, v16, v137, v21 op_sel:[1,0,0]
	v_cvt_f16_i16_sdwa v136, sext(v150) dst_sel:DWORD dst_unused:UNUSED_PAD src0_sel:BYTE_0
	v_cvt_f16_i16_sdwa v137, sext(v150) dst_sel:DWORD dst_unused:UNUSED_PAD src0_sel:BYTE_1
	v_pack_b32_f16 v136, v136, v137
	v_lshrrev_b32_e32 v137, 16, v150
	v_cvt_f16_i16_sdwa v138, sext(v137) dst_sel:DWORD dst_unused:UNUSED_PAD src0_sel:BYTE_0
	v_cvt_f16_i16_sdwa v137, sext(v137) dst_sel:DWORD dst_unused:UNUSED_PAD src0_sel:BYTE_1
	v_pack_b32_f16 v137, v138, v137
	v_pk_mul_f16 v136, v136, v154 op_sel_hi:[1,0]
	v_pk_mul_f16 v137, v154, v137 op_sel_hi:[0,1]
	v_pk_fma_f16 v138, v16, v136, v23 op_sel:[1,0,0]
	v_pk_fma_f16 v16, v16, v137, v135 op_sel:[1,0,0]
	s_waitcnt vmcnt(7)
	v_cvt_f16_i16_sdwa v23, sext(v156) dst_sel:DWORD dst_unused:UNUSED_PAD src0_sel:BYTE_0
	v_cvt_f16_i16_sdwa v135, sext(v156) dst_sel:DWORD dst_unused:UNUSED_PAD src0_sel:BYTE_1
	v_pack_b32_f16 v23, v23, v135
	v_lshrrev_b32_e32 v135, 16, v156
	v_cvt_f16_i16_sdwa v136, sext(v135) dst_sel:DWORD dst_unused:UNUSED_PAD src0_sel:BYTE_0
	v_cvt_f16_i16_sdwa v135, sext(v135) dst_sel:DWORD dst_unused:UNUSED_PAD src0_sel:BYTE_1
	v_pack_b32_f16 v135, v136, v135
	s_waitcnt vmcnt(2)
	v_pk_mul_f16 v23, v23, v22 op_sel_hi:[1,0]
	v_pk_mul_f16 v22, v22, v135 op_sel_hi:[0,1]
	v_pk_fma_f16 v135, v17, v23, v20 op_sel_hi:[0,1,1]
	v_add_co_u32_e32 v20, vcc, s19, v84
	v_pk_fma_f16 v146, v17, v22, v21 op_sel_hi:[0,1,1]
	v_addc_co_u32_e32 v21, vcc, v140, v57, vcc
	v_mad_u64_u32 v[22:23], s[12:13], v58, 34, v[20:21]
	v_add_co_u32_e32 v136, vcc, v22, v60
	v_addc_co_u32_e32 v137, vcc, 0, v23, vcc
	global_load_dword v147, v[136:137], off offset:2
	v_add_co_u32_e32 v136, vcc, s19, v86
	v_addc_co_u32_e32 v137, vcc, v140, v59, vcc
	v_mad_u64_u32 v[142:143], s[12:13], v50, 34, v[136:137]
	v_add_co_u32_e32 v144, vcc, v142, v52
	v_addc_co_u32_e32 v145, vcc, 0, v143, vcc
	v_mad_u64_u32 v[136:137], s[12:13], v58, 34, v[136:137]
	global_load_dword v148, v[144:145], off offset:2
	global_load_ushort v149, v[142:143], off
	v_add_co_u32_e32 v142, vcc, v136, v60
	v_addc_co_u32_e32 v143, vcc, 0, v137, vcc
	v_mad_u64_u32 v[20:21], s[12:13], v50, 34, v[20:21]
	global_load_dword v150, v[142:143], off offset:2
	global_load_ushort v151, v[136:137], off
	v_add_co_u32_e32 v136, vcc, v20, v52
	v_addc_co_u32_e32 v137, vcc, 0, v21, vcc
	global_load_dword v152, v[136:137], off offset:2
	global_load_ushort v153, v[20:21], off
	global_load_ushort v154, v[22:23], off
	v_cvt_f16_i16_sdwa v20, sext(v160) dst_sel:DWORD dst_unused:UNUSED_PAD src0_sel:BYTE_0
	v_cvt_f16_i16_sdwa v21, sext(v160) dst_sel:DWORD dst_unused:UNUSED_PAD src0_sel:BYTE_1
	v_pack_b32_f16 v155, v20, v21
	v_add_co_u32_e32 v20, vcc, s19, v88
	v_addc_co_u32_e32 v21, vcc, v140, v61, vcc
	v_mad_u64_u32 v[22:23], s[12:13], v58, 34, v[20:21]
	v_add_co_u32_e32 v136, vcc, v22, v60
	v_addc_co_u32_e32 v137, vcc, 0, v23, vcc
	global_load_dword v156, v[136:137], off offset:2
	v_add_co_u32_e32 v136, vcc, s19, v90
	v_addc_co_u32_e32 v137, vcc, v140, v63, vcc
	v_mad_u64_u32 v[142:143], s[12:13], v50, 34, v[136:137]
	v_add_co_u32_e32 v144, vcc, v142, v52
	v_addc_co_u32_e32 v145, vcc, 0, v143, vcc
	v_mad_u64_u32 v[136:137], s[12:13], v58, 34, v[136:137]
	global_load_dword v144, v[144:145], off offset:2
	s_nop 0
	global_load_ushort v145, v[142:143], off
	v_add_co_u32_e32 v142, vcc, v136, v60
	v_addc_co_u32_e32 v143, vcc, 0, v137, vcc
	v_mad_u64_u32 v[20:21], s[12:13], v50, 34, v[20:21]
	global_load_dword v142, v[142:143], off offset:2
	s_nop 0
	global_load_ushort v143, v[136:137], off
	v_add_co_u32_e32 v136, vcc, v20, v52
	v_addc_co_u32_e32 v137, vcc, 0, v21, vcc
	global_load_dword v136, v[136:137], off offset:2
	s_nop 0
	global_load_ushort v20, v[20:21], off
	s_nop 0
	global_load_ushort v21, v[22:23], off
	v_lshrrev_b32_e32 v22, 16, v160
	v_cvt_f16_i16_sdwa v23, sext(v22) dst_sel:DWORD dst_unused:UNUSED_PAD src0_sel:BYTE_0
	v_cvt_f16_i16_sdwa v22, sext(v22) dst_sel:DWORD dst_unused:UNUSED_PAD src0_sel:BYTE_1
	v_pack_b32_f16 v22, v23, v22
	v_pk_mul_f16 v22, v157, v22 op_sel_hi:[0,1]
	v_pk_fma_f16 v16, v17, v22, v16 op_sel_hi:[0,1,1]
	v_cvt_f16_i16_sdwa v22, sext(v159) dst_sel:DWORD dst_unused:UNUSED_PAD src0_sel:BYTE_0
	v_cvt_f16_i16_sdwa v137, sext(v159) dst_sel:DWORD dst_unused:UNUSED_PAD src0_sel:BYTE_1
	v_pk_mul_f16 v23, v155, v157 op_sel_hi:[1,0]
	v_pack_b32_f16 v22, v22, v137
	v_lshrrev_b32_e32 v137, 16, v159
	v_pk_fma_f16 v23, v17, v23, v138 op_sel_hi:[0,1,1]
	v_cvt_f16_i16_sdwa v138, sext(v137) dst_sel:DWORD dst_unused:UNUSED_PAD src0_sel:BYTE_0
	v_cvt_f16_i16_sdwa v137, sext(v137) dst_sel:DWORD dst_unused:UNUSED_PAD src0_sel:BYTE_1
	v_pack_b32_f16 v137, v138, v137
	s_waitcnt vmcnt(16)
	v_pk_mul_f16 v22, v22, v162 op_sel_hi:[1,0]
	v_pk_mul_f16 v137, v162, v137 op_sel_hi:[0,1]
	v_pk_fma_f16 v22, v17, v22, v135 op_sel:[1,0,0]
	v_pk_fma_f16 v135, v17, v137, v146 op_sel:[1,0,0]
	v_cvt_f16_i16_sdwa v137, sext(v158) dst_sel:DWORD dst_unused:UNUSED_PAD src0_sel:BYTE_0
	v_cvt_f16_i16_sdwa v138, sext(v158) dst_sel:DWORD dst_unused:UNUSED_PAD src0_sel:BYTE_1
	v_pack_b32_f16 v137, v137, v138
	v_lshrrev_b32_e32 v138, 16, v158
	v_cvt_f16_i16_sdwa v146, sext(v138) dst_sel:DWORD dst_unused:UNUSED_PAD src0_sel:BYTE_0
	v_cvt_f16_i16_sdwa v138, sext(v138) dst_sel:DWORD dst_unused:UNUSED_PAD src0_sel:BYTE_1
	v_pack_b32_f16 v138, v146, v138
	v_pk_mul_f16 v137, v137, v161 op_sel_hi:[1,0]
	v_pk_mul_f16 v138, v161, v138 op_sel_hi:[0,1]
	v_pk_fma_f16 v23, v17, v137, v23 op_sel:[1,0,0]
	v_pk_fma_f16 v16, v17, v138, v16 op_sel:[1,0,0]
	s_waitcnt vmcnt(15)
	v_cvt_f16_i16_sdwa v17, sext(v147) dst_sel:DWORD dst_unused:UNUSED_PAD src0_sel:BYTE_0
	v_cvt_f16_i16_sdwa v137, sext(v147) dst_sel:DWORD dst_unused:UNUSED_PAD src0_sel:BYTE_1
	v_pack_b32_f16 v17, v17, v137
	v_lshrrev_b32_e32 v137, 16, v147
	v_cvt_f16_i16_sdwa v138, sext(v137) dst_sel:DWORD dst_unused:UNUSED_PAD src0_sel:BYTE_0
	v_cvt_f16_i16_sdwa v137, sext(v137) dst_sel:DWORD dst_unused:UNUSED_PAD src0_sel:BYTE_1
	v_pack_b32_f16 v137, v138, v137
	s_waitcnt vmcnt(8)
	v_pk_mul_f16 v17, v17, v154 op_sel_hi:[1,0]
	v_pk_mul_f16 v137, v154, v137 op_sel_hi:[0,1]
	v_pk_fma_f16 v17, v18, v17, v22 op_sel_hi:[0,1,1]
	v_pk_fma_f16 v22, v18, v137, v135 op_sel_hi:[0,1,1]
	v_cvt_f16_i16_sdwa v135, sext(v152) dst_sel:DWORD dst_unused:UNUSED_PAD src0_sel:BYTE_0
	v_cvt_f16_i16_sdwa v137, sext(v152) dst_sel:DWORD dst_unused:UNUSED_PAD src0_sel:BYTE_1
	v_pack_b32_f16 v135, v135, v137
	v_lshrrev_b32_e32 v137, 16, v152
	v_cvt_f16_i16_sdwa v138, sext(v137) dst_sel:DWORD dst_unused:UNUSED_PAD src0_sel:BYTE_0
	v_cvt_f16_i16_sdwa v137, sext(v137) dst_sel:DWORD dst_unused:UNUSED_PAD src0_sel:BYTE_1
	v_pack_b32_f16 v137, v138, v137
	v_pk_mul_f16 v135, v135, v153 op_sel_hi:[1,0]
	v_pk_mul_f16 v137, v153, v137 op_sel_hi:[0,1]
	v_pk_fma_f16 v23, v18, v135, v23 op_sel_hi:[0,1,1]
	v_pk_fma_f16 v16, v18, v137, v16 op_sel_hi:[0,1,1]
	v_cvt_f16_i16_sdwa v135, sext(v150) dst_sel:DWORD dst_unused:UNUSED_PAD src0_sel:BYTE_0
	v_cvt_f16_i16_sdwa v137, sext(v150) dst_sel:DWORD dst_unused:UNUSED_PAD src0_sel:BYTE_1
	v_pack_b32_f16 v135, v135, v137
	v_lshrrev_b32_e32 v137, 16, v150
	v_cvt_f16_i16_sdwa v138, sext(v137) dst_sel:DWORD dst_unused:UNUSED_PAD src0_sel:BYTE_0
	v_cvt_f16_i16_sdwa v137, sext(v137) dst_sel:DWORD dst_unused:UNUSED_PAD src0_sel:BYTE_1
	v_pack_b32_f16 v137, v138, v137
	v_pk_mul_f16 v135, v135, v151 op_sel_hi:[1,0]
	v_pk_mul_f16 v137, v151, v137 op_sel_hi:[0,1]
	v_pk_fma_f16 v17, v18, v135, v17 op_sel:[1,0,0]
	v_pk_fma_f16 v22, v18, v137, v22 op_sel:[1,0,0]
	v_cvt_f16_i16_sdwa v135, sext(v148) dst_sel:DWORD dst_unused:UNUSED_PAD src0_sel:BYTE_0
	v_cvt_f16_i16_sdwa v137, sext(v148) dst_sel:DWORD dst_unused:UNUSED_PAD src0_sel:BYTE_1
	v_pack_b32_f16 v135, v135, v137
	v_lshrrev_b32_e32 v137, 16, v148
	v_cvt_f16_i16_sdwa v138, sext(v137) dst_sel:DWORD dst_unused:UNUSED_PAD src0_sel:BYTE_0
	v_cvt_f16_i16_sdwa v137, sext(v137) dst_sel:DWORD dst_unused:UNUSED_PAD src0_sel:BYTE_1
	v_pack_b32_f16 v137, v138, v137
	v_pk_mul_f16 v135, v135, v149 op_sel_hi:[1,0]
	v_pk_mul_f16 v137, v149, v137 op_sel_hi:[0,1]
	v_pk_fma_f16 v23, v18, v135, v23 op_sel:[1,0,0]
	v_pk_fma_f16 v16, v18, v137, v16 op_sel:[1,0,0]
	s_waitcnt vmcnt(7)
	v_cvt_f16_i16_sdwa v18, sext(v156) dst_sel:DWORD dst_unused:UNUSED_PAD src0_sel:BYTE_0
	v_cvt_f16_i16_sdwa v135, sext(v156) dst_sel:DWORD dst_unused:UNUSED_PAD src0_sel:BYTE_1
	v_pack_b32_f16 v18, v18, v135
	v_lshrrev_b32_e32 v135, 16, v156
	v_cvt_f16_i16_sdwa v137, sext(v135) dst_sel:DWORD dst_unused:UNUSED_PAD src0_sel:BYTE_0
	v_cvt_f16_i16_sdwa v135, sext(v135) dst_sel:DWORD dst_unused:UNUSED_PAD src0_sel:BYTE_1
	v_pack_b32_f16 v135, v137, v135
	s_waitcnt vmcnt(0)
	v_pk_mul_f16 v18, v18, v21 op_sel_hi:[1,0]
	v_pk_mul_f16 v21, v21, v135 op_sel_hi:[0,1]
	v_pk_fma_f16 v17, v19, v18, v17 op_sel_hi:[0,1,1]
	v_pk_fma_f16 v18, v19, v21, v22 op_sel_hi:[0,1,1]
	v_lshrrev_b32_e32 v21, 16, v136
	v_cvt_f16_i16_sdwa v22, sext(v136) dst_sel:DWORD dst_unused:UNUSED_PAD src0_sel:BYTE_0
	v_cvt_f16_i16_sdwa v135, sext(v136) dst_sel:DWORD dst_unused:UNUSED_PAD src0_sel:BYTE_1
	v_pack_b32_f16 v22, v22, v135
	v_cvt_f16_i16_sdwa v135, sext(v21) dst_sel:DWORD dst_unused:UNUSED_PAD src0_sel:BYTE_0
	v_cvt_f16_i16_sdwa v21, sext(v21) dst_sel:DWORD dst_unused:UNUSED_PAD src0_sel:BYTE_1
	v_pack_b32_f16 v21, v135, v21
	v_pk_mul_f16 v22, v22, v20 op_sel_hi:[1,0]
	v_pk_mul_f16 v20, v20, v21 op_sel_hi:[0,1]
	v_pk_fma_f16 v138, v19, v20, v16 op_sel_hi:[0,1,1]
	v_lshrrev_b32_e32 v16, 16, v142
	v_cvt_f16_i16_sdwa v20, sext(v142) dst_sel:DWORD dst_unused:UNUSED_PAD src0_sel:BYTE_0
	v_cvt_f16_i16_sdwa v21, sext(v142) dst_sel:DWORD dst_unused:UNUSED_PAD src0_sel:BYTE_1
	v_pack_b32_f16 v20, v20, v21
	v_cvt_f16_i16_sdwa v21, sext(v16) dst_sel:DWORD dst_unused:UNUSED_PAD src0_sel:BYTE_0
	v_cvt_f16_i16_sdwa v16, sext(v16) dst_sel:DWORD dst_unused:UNUSED_PAD src0_sel:BYTE_1
	v_pack_b32_f16 v16, v21, v16
	v_pk_mul_f16 v20, v20, v143 op_sel_hi:[1,0]
	v_pk_mul_f16 v146, v143, v16 op_sel_hi:[0,1]
	v_add_co_u32_e32 v16, vcc, s19, v92
	v_pk_fma_f16 v147, v19, v20, v17 op_sel:[1,0,0]
	v_addc_co_u32_e32 v17, vcc, v140, v65, vcc
	v_mad_u64_u32 v[20:21], s[12:13], v58, 34, v[16:17]
	v_pk_fma_f16 v135, v19, v22, v23 op_sel_hi:[0,1,1]
	v_add_co_u32_e32 v22, vcc, v20, v60
	v_addc_co_u32_e32 v23, vcc, 0, v21, vcc
	global_load_dword v148, v[22:23], off offset:2
	v_add_co_u32_e32 v22, vcc, s19, v94
	v_addc_co_u32_e32 v23, vcc, v140, v67, vcc
	v_mad_u64_u32 v[136:137], s[12:13], v50, 34, v[22:23]
	v_add_co_u32_e32 v142, vcc, v136, v52
	v_addc_co_u32_e32 v143, vcc, 0, v137, vcc
	v_mad_u64_u32 v[22:23], s[12:13], v58, 34, v[22:23]
	global_load_dword v142, v[142:143], off offset:2
	s_nop 0
	global_load_ushort v143, v[136:137], off
	v_add_co_u32_e32 v136, vcc, v22, v60
	v_addc_co_u32_e32 v137, vcc, 0, v23, vcc
	v_mad_u64_u32 v[16:17], s[12:13], v50, 34, v[16:17]
	global_load_dword v149, v[136:137], off offset:2
	global_load_ushort v150, v[22:23], off
	v_add_co_u32_e32 v22, vcc, v16, v52
	v_addc_co_u32_e32 v23, vcc, 0, v17, vcc
	global_load_dword v151, v[22:23], off offset:2
	global_load_ushort v152, v[16:17], off
	global_load_ushort v153, v[20:21], off
	v_cvt_f16_i16_sdwa v16, sext(v144) dst_sel:DWORD dst_unused:UNUSED_PAD src0_sel:BYTE_0
	v_cvt_f16_i16_sdwa v17, sext(v144) dst_sel:DWORD dst_unused:UNUSED_PAD src0_sel:BYTE_1
	v_pack_b32_f16 v16, v16, v17
	v_lshrrev_b32_e32 v17, 16, v144
	v_pk_fma_f16 v146, v19, v146, v18 op_sel:[1,0,0]
	v_cvt_f16_i16_sdwa v18, sext(v17) dst_sel:DWORD dst_unused:UNUSED_PAD src0_sel:BYTE_0
	v_cvt_f16_i16_sdwa v17, sext(v17) dst_sel:DWORD dst_unused:UNUSED_PAD src0_sel:BYTE_1
	v_pack_b32_f16 v17, v18, v17
	v_pk_mul_f16 v16, v16, v145 op_sel_hi:[1,0]
	v_pk_mul_f16 v17, v145, v17 op_sel_hi:[0,1]
	v_pk_fma_f16 v135, v19, v16, v135 op_sel:[1,0,0]
	v_add_co_u32_e32 v16, vcc, s19, v96
	v_pk_fma_f16 v138, v19, v17, v138 op_sel:[1,0,0]
	v_addc_co_u32_e32 v17, vcc, v140, v69, vcc
	v_mad_u64_u32 v[18:19], s[12:13], v58, 34, v[16:17]
	v_add_co_u32_e32 v20, vcc, v18, v60
	v_addc_co_u32_e32 v21, vcc, 0, v19, vcc
	v_mad_u64_u32 v[16:17], s[12:13], v50, 34, v[16:17]
	global_load_dword v144, v[20:21], off offset:2
	global_load_ushort v154, v[16:17], off
	v_add_co_u32_e32 v20, vcc, v16, v52
	v_addc_co_u32_e32 v21, vcc, 0, v17, vcc
	v_add_co_u32_e32 v16, vcc, s19, v98
	v_addc_co_u32_e32 v17, vcc, v140, v71, vcc
	v_mad_u64_u32 v[22:23], s[12:13], v50, 34, v[16:17]
	v_add_co_u32_e32 v136, vcc, v22, v52
	v_addc_co_u32_e32 v137, vcc, 0, v23, vcc
	v_mad_u64_u32 v[16:17], s[12:13], v58, 34, v[16:17]
	global_load_dword v155, v[136:137], off offset:2
	v_add_co_u32_e32 v136, vcc, v16, v60
	v_addc_co_u32_e32 v137, vcc, 0, v17, vcc
	global_load_dword v156, v[136:137], off offset:2
	global_load_dword v157, v[20:21], off offset:2
	s_nop 0
	global_load_ushort v136, v[18:19], off
	global_load_ushort v158, v[22:23], off
	;; [unrolled: 1-line block ×3, first 2 shown]
	s_waitcnt vmcnt(15)
	v_cvt_f16_i16_sdwa v16, sext(v148) dst_sel:DWORD dst_unused:UNUSED_PAD src0_sel:BYTE_0
	v_cvt_f16_i16_sdwa v17, sext(v148) dst_sel:DWORD dst_unused:UNUSED_PAD src0_sel:BYTE_1
	v_pack_b32_f16 v16, v16, v17
	v_lshrrev_b32_e32 v17, 16, v148
	v_cvt_f16_i16_sdwa v18, sext(v17) dst_sel:DWORD dst_unused:UNUSED_PAD src0_sel:BYTE_0
	v_cvt_f16_i16_sdwa v17, sext(v17) dst_sel:DWORD dst_unused:UNUSED_PAD src0_sel:BYTE_1
	v_pack_b32_f16 v17, v18, v17
	s_waitcnt vmcnt(8)
	v_pk_mul_f16 v137, v16, v153 op_sel_hi:[1,0]
	v_pk_mul_f16 v145, v153, v17 op_sel_hi:[0,1]
	ds_read_b128 v[20:23], v132 offset:32
	ds_read_b128 v[16:19], v132 offset:48
	s_waitcnt lgkmcnt(1)
	v_pk_fma_f16 v137, v20, v137, v147 op_sel_hi:[0,1,1]
	v_pk_fma_f16 v145, v20, v145, v146 op_sel_hi:[0,1,1]
	v_cvt_f16_i16_sdwa v146, sext(v151) dst_sel:DWORD dst_unused:UNUSED_PAD src0_sel:BYTE_0
	v_cvt_f16_i16_sdwa v147, sext(v151) dst_sel:DWORD dst_unused:UNUSED_PAD src0_sel:BYTE_1
	v_pack_b32_f16 v146, v146, v147
	v_lshrrev_b32_e32 v147, 16, v151
	v_cvt_f16_i16_sdwa v148, sext(v147) dst_sel:DWORD dst_unused:UNUSED_PAD src0_sel:BYTE_0
	v_cvt_f16_i16_sdwa v147, sext(v147) dst_sel:DWORD dst_unused:UNUSED_PAD src0_sel:BYTE_1
	v_pack_b32_f16 v147, v148, v147
	v_pk_mul_f16 v146, v146, v152 op_sel_hi:[1,0]
	v_pk_mul_f16 v147, v152, v147 op_sel_hi:[0,1]
	v_pk_fma_f16 v135, v20, v146, v135 op_sel_hi:[0,1,1]
	v_pk_fma_f16 v138, v20, v147, v138 op_sel_hi:[0,1,1]
	v_cvt_f16_i16_sdwa v146, sext(v149) dst_sel:DWORD dst_unused:UNUSED_PAD src0_sel:BYTE_0
	v_cvt_f16_i16_sdwa v147, sext(v149) dst_sel:DWORD dst_unused:UNUSED_PAD src0_sel:BYTE_1
	v_pack_b32_f16 v146, v146, v147
	v_lshrrev_b32_e32 v147, 16, v149
	v_cvt_f16_i16_sdwa v148, sext(v147) dst_sel:DWORD dst_unused:UNUSED_PAD src0_sel:BYTE_0
	v_cvt_f16_i16_sdwa v147, sext(v147) dst_sel:DWORD dst_unused:UNUSED_PAD src0_sel:BYTE_1
	v_pack_b32_f16 v147, v148, v147
	v_pk_mul_f16 v146, v146, v150 op_sel_hi:[1,0]
	v_pk_mul_f16 v147, v150, v147 op_sel_hi:[0,1]
	v_pk_fma_f16 v137, v20, v146, v137 op_sel:[1,0,0]
	v_pk_fma_f16 v145, v20, v147, v145 op_sel:[1,0,0]
	v_cvt_f16_i16_sdwa v146, sext(v142) dst_sel:DWORD dst_unused:UNUSED_PAD src0_sel:BYTE_0
	v_cvt_f16_i16_sdwa v147, sext(v142) dst_sel:DWORD dst_unused:UNUSED_PAD src0_sel:BYTE_1
	v_lshrrev_b32_e32 v142, 16, v142
	v_pack_b32_f16 v146, v146, v147
	v_cvt_f16_i16_sdwa v147, sext(v142) dst_sel:DWORD dst_unused:UNUSED_PAD src0_sel:BYTE_0
	v_cvt_f16_i16_sdwa v142, sext(v142) dst_sel:DWORD dst_unused:UNUSED_PAD src0_sel:BYTE_1
	v_pack_b32_f16 v142, v147, v142
	v_pk_mul_f16 v146, v146, v143 op_sel_hi:[1,0]
	v_pk_mul_f16 v142, v143, v142 op_sel_hi:[0,1]
	v_pk_fma_f16 v135, v20, v146, v135 op_sel:[1,0,0]
	v_pk_fma_f16 v20, v20, v142, v138 op_sel:[1,0,0]
	s_waitcnt vmcnt(7)
	v_cvt_f16_i16_sdwa v138, sext(v144) dst_sel:DWORD dst_unused:UNUSED_PAD src0_sel:BYTE_0
	v_cvt_f16_i16_sdwa v142, sext(v144) dst_sel:DWORD dst_unused:UNUSED_PAD src0_sel:BYTE_1
	v_pack_b32_f16 v138, v138, v142
	v_lshrrev_b32_e32 v142, 16, v144
	v_cvt_f16_i16_sdwa v143, sext(v142) dst_sel:DWORD dst_unused:UNUSED_PAD src0_sel:BYTE_0
	v_cvt_f16_i16_sdwa v142, sext(v142) dst_sel:DWORD dst_unused:UNUSED_PAD src0_sel:BYTE_1
	v_pack_b32_f16 v142, v143, v142
	s_waitcnt vmcnt(2)
	v_pk_mul_f16 v138, v138, v136 op_sel_hi:[1,0]
	v_pk_mul_f16 v136, v136, v142 op_sel_hi:[0,1]
	v_pk_fma_f16 v150, v21, v136, v145 op_sel_hi:[0,1,1]
	v_add_co_u32_e32 v136, vcc, s19, v100
	v_pk_fma_f16 v138, v21, v138, v137 op_sel_hi:[0,1,1]
	v_addc_co_u32_e32 v137, vcc, v140, v73, vcc
	v_mad_u64_u32 v[142:143], s[12:13], v58, 34, v[136:137]
	v_add_co_u32_e32 v144, vcc, v142, v60
	v_addc_co_u32_e32 v145, vcc, 0, v143, vcc
	global_load_dword v151, v[144:145], off offset:2
	v_add_co_u32_e32 v144, vcc, s19, v102
	v_addc_co_u32_e32 v145, vcc, v140, v75, vcc
	v_mad_u64_u32 v[146:147], s[12:13], v50, 34, v[144:145]
	v_add_co_u32_e32 v148, vcc, v146, v52
	v_addc_co_u32_e32 v149, vcc, 0, v147, vcc
	v_mad_u64_u32 v[144:145], s[12:13], v58, 34, v[144:145]
	global_load_dword v152, v[148:149], off offset:2
	global_load_ushort v153, v[146:147], off
	v_add_co_u32_e32 v146, vcc, v144, v60
	v_addc_co_u32_e32 v147, vcc, 0, v145, vcc
	v_mad_u64_u32 v[136:137], s[12:13], v50, 34, v[136:137]
	global_load_dword v160, v[146:147], off offset:2
	global_load_ushort v161, v[144:145], off
	v_add_co_u32_e32 v144, vcc, v136, v52
	v_addc_co_u32_e32 v145, vcc, 0, v137, vcc
	global_load_dword v162, v[144:145], off offset:2
	global_load_ushort v163, v[136:137], off
	global_load_ushort v164, v[142:143], off
	v_cvt_f16_i16_sdwa v136, sext(v157) dst_sel:DWORD dst_unused:UNUSED_PAD src0_sel:BYTE_0
	v_cvt_f16_i16_sdwa v137, sext(v157) dst_sel:DWORD dst_unused:UNUSED_PAD src0_sel:BYTE_1
	v_pack_b32_f16 v165, v136, v137
	v_add_co_u32_e32 v136, vcc, s19, v104
	v_addc_co_u32_e32 v137, vcc, v140, v77, vcc
	v_mad_u64_u32 v[142:143], s[12:13], v58, 34, v[136:137]
	v_add_co_u32_e32 v144, vcc, v142, v60
	v_addc_co_u32_e32 v145, vcc, 0, v143, vcc
	global_load_dword v166, v[144:145], off offset:2
	v_add_co_u32_e32 v144, vcc, s19, v106
	v_addc_co_u32_e32 v145, vcc, v140, v79, vcc
	v_mad_u64_u32 v[146:147], s[12:13], v50, 34, v[144:145]
	v_add_co_u32_e32 v148, vcc, v146, v52
	v_addc_co_u32_e32 v149, vcc, 0, v147, vcc
	v_mad_u64_u32 v[144:145], s[12:13], v58, 34, v[144:145]
	global_load_dword v148, v[148:149], off offset:2
	s_nop 0
	global_load_ushort v149, v[146:147], off
	v_add_co_u32_e32 v146, vcc, v144, v60
	v_addc_co_u32_e32 v147, vcc, 0, v145, vcc
	v_mad_u64_u32 v[136:137], s[12:13], v50, 34, v[136:137]
	global_load_dword v146, v[146:147], off offset:2
	s_nop 0
	global_load_ushort v147, v[144:145], off
	v_add_co_u32_e32 v144, vcc, v136, v52
	v_addc_co_u32_e32 v145, vcc, 0, v137, vcc
	global_load_dword v144, v[144:145], off offset:2
	s_nop 0
	global_load_ushort v136, v[136:137], off
	s_nop 0
	global_load_ushort v137, v[142:143], off
	v_lshrrev_b32_e32 v142, 16, v157
	v_cvt_f16_i16_sdwa v143, sext(v142) dst_sel:DWORD dst_unused:UNUSED_PAD src0_sel:BYTE_0
	v_cvt_f16_i16_sdwa v142, sext(v142) dst_sel:DWORD dst_unused:UNUSED_PAD src0_sel:BYTE_1
	v_pack_b32_f16 v142, v143, v142
	v_pk_mul_f16 v143, v165, v154 op_sel_hi:[1,0]
	v_pk_mul_f16 v142, v154, v142 op_sel_hi:[0,1]
	v_pk_fma_f16 v135, v21, v143, v135 op_sel_hi:[0,1,1]
	v_pk_fma_f16 v20, v21, v142, v20 op_sel_hi:[0,1,1]
	v_cvt_f16_i16_sdwa v142, sext(v156) dst_sel:DWORD dst_unused:UNUSED_PAD src0_sel:BYTE_0
	v_cvt_f16_i16_sdwa v143, sext(v156) dst_sel:DWORD dst_unused:UNUSED_PAD src0_sel:BYTE_1
	v_pack_b32_f16 v142, v142, v143
	v_lshrrev_b32_e32 v143, 16, v156
	v_cvt_f16_i16_sdwa v145, sext(v143) dst_sel:DWORD dst_unused:UNUSED_PAD src0_sel:BYTE_0
	v_cvt_f16_i16_sdwa v143, sext(v143) dst_sel:DWORD dst_unused:UNUSED_PAD src0_sel:BYTE_1
	v_pack_b32_f16 v143, v145, v143
	s_waitcnt vmcnt(16)
	v_pk_mul_f16 v142, v142, v159 op_sel_hi:[1,0]
	v_pk_mul_f16 v143, v159, v143 op_sel_hi:[0,1]
	v_pk_fma_f16 v138, v21, v142, v138 op_sel:[1,0,0]
	v_pk_fma_f16 v142, v21, v143, v150 op_sel:[1,0,0]
	v_cvt_f16_i16_sdwa v143, sext(v155) dst_sel:DWORD dst_unused:UNUSED_PAD src0_sel:BYTE_0
	v_cvt_f16_i16_sdwa v145, sext(v155) dst_sel:DWORD dst_unused:UNUSED_PAD src0_sel:BYTE_1
	v_pack_b32_f16 v143, v143, v145
	v_lshrrev_b32_e32 v145, 16, v155
	v_cvt_f16_i16_sdwa v150, sext(v145) dst_sel:DWORD dst_unused:UNUSED_PAD src0_sel:BYTE_0
	v_cvt_f16_i16_sdwa v145, sext(v145) dst_sel:DWORD dst_unused:UNUSED_PAD src0_sel:BYTE_1
	v_pack_b32_f16 v145, v150, v145
	v_pk_mul_f16 v143, v143, v158 op_sel_hi:[1,0]
	v_pk_mul_f16 v145, v158, v145 op_sel_hi:[0,1]
	v_pk_fma_f16 v135, v21, v143, v135 op_sel:[1,0,0]
	v_pk_fma_f16 v20, v21, v145, v20 op_sel:[1,0,0]
	s_waitcnt vmcnt(15)
	v_cvt_f16_i16_sdwa v21, sext(v151) dst_sel:DWORD dst_unused:UNUSED_PAD src0_sel:BYTE_0
	v_cvt_f16_i16_sdwa v143, sext(v151) dst_sel:DWORD dst_unused:UNUSED_PAD src0_sel:BYTE_1
	v_pack_b32_f16 v21, v21, v143
	v_lshrrev_b32_e32 v143, 16, v151
	v_cvt_f16_i16_sdwa v145, sext(v143) dst_sel:DWORD dst_unused:UNUSED_PAD src0_sel:BYTE_0
	v_cvt_f16_i16_sdwa v143, sext(v143) dst_sel:DWORD dst_unused:UNUSED_PAD src0_sel:BYTE_1
	v_pack_b32_f16 v143, v145, v143
	s_waitcnt vmcnt(8)
	v_pk_mul_f16 v21, v21, v164 op_sel_hi:[1,0]
	v_pk_mul_f16 v143, v164, v143 op_sel_hi:[0,1]
	v_pk_fma_f16 v21, v22, v21, v138 op_sel_hi:[0,1,1]
	v_pk_fma_f16 v138, v22, v143, v142 op_sel_hi:[0,1,1]
	v_cvt_f16_i16_sdwa v142, sext(v162) dst_sel:DWORD dst_unused:UNUSED_PAD src0_sel:BYTE_0
	v_cvt_f16_i16_sdwa v143, sext(v162) dst_sel:DWORD dst_unused:UNUSED_PAD src0_sel:BYTE_1
	v_pack_b32_f16 v142, v142, v143
	v_lshrrev_b32_e32 v143, 16, v162
	v_cvt_f16_i16_sdwa v145, sext(v143) dst_sel:DWORD dst_unused:UNUSED_PAD src0_sel:BYTE_0
	v_cvt_f16_i16_sdwa v143, sext(v143) dst_sel:DWORD dst_unused:UNUSED_PAD src0_sel:BYTE_1
	v_pack_b32_f16 v143, v145, v143
	v_pk_mul_f16 v142, v142, v163 op_sel_hi:[1,0]
	v_pk_mul_f16 v143, v163, v143 op_sel_hi:[0,1]
	v_pk_fma_f16 v135, v22, v142, v135 op_sel_hi:[0,1,1]
	v_pk_fma_f16 v20, v22, v143, v20 op_sel_hi:[0,1,1]
	v_cvt_f16_i16_sdwa v142, sext(v160) dst_sel:DWORD dst_unused:UNUSED_PAD src0_sel:BYTE_0
	v_cvt_f16_i16_sdwa v143, sext(v160) dst_sel:DWORD dst_unused:UNUSED_PAD src0_sel:BYTE_1
	v_pack_b32_f16 v142, v142, v143
	v_lshrrev_b32_e32 v143, 16, v160
	v_cvt_f16_i16_sdwa v145, sext(v143) dst_sel:DWORD dst_unused:UNUSED_PAD src0_sel:BYTE_0
	v_cvt_f16_i16_sdwa v143, sext(v143) dst_sel:DWORD dst_unused:UNUSED_PAD src0_sel:BYTE_1
	v_pack_b32_f16 v143, v145, v143
	v_pk_mul_f16 v142, v142, v161 op_sel_hi:[1,0]
	v_pk_mul_f16 v143, v161, v143 op_sel_hi:[0,1]
	v_pk_fma_f16 v21, v22, v142, v21 op_sel:[1,0,0]
	v_pk_fma_f16 v138, v22, v143, v138 op_sel:[1,0,0]
	v_cvt_f16_i16_sdwa v142, sext(v152) dst_sel:DWORD dst_unused:UNUSED_PAD src0_sel:BYTE_0
	v_cvt_f16_i16_sdwa v143, sext(v152) dst_sel:DWORD dst_unused:UNUSED_PAD src0_sel:BYTE_1
	v_pack_b32_f16 v142, v142, v143
	v_lshrrev_b32_e32 v143, 16, v152
	v_cvt_f16_i16_sdwa v145, sext(v143) dst_sel:DWORD dst_unused:UNUSED_PAD src0_sel:BYTE_0
	v_cvt_f16_i16_sdwa v143, sext(v143) dst_sel:DWORD dst_unused:UNUSED_PAD src0_sel:BYTE_1
	v_pack_b32_f16 v143, v145, v143
	v_pk_mul_f16 v142, v142, v153 op_sel_hi:[1,0]
	v_pk_mul_f16 v143, v153, v143 op_sel_hi:[0,1]
	v_pk_fma_f16 v135, v22, v142, v135 op_sel:[1,0,0]
	v_pk_fma_f16 v20, v22, v143, v20 op_sel:[1,0,0]
	s_waitcnt vmcnt(7)
	v_cvt_f16_i16_sdwa v22, sext(v166) dst_sel:DWORD dst_unused:UNUSED_PAD src0_sel:BYTE_0
	v_cvt_f16_i16_sdwa v142, sext(v166) dst_sel:DWORD dst_unused:UNUSED_PAD src0_sel:BYTE_1
	v_pack_b32_f16 v22, v22, v142
	v_lshrrev_b32_e32 v142, 16, v166
	v_cvt_f16_i16_sdwa v143, sext(v142) dst_sel:DWORD dst_unused:UNUSED_PAD src0_sel:BYTE_0
	v_cvt_f16_i16_sdwa v142, sext(v142) dst_sel:DWORD dst_unused:UNUSED_PAD src0_sel:BYTE_1
	v_pack_b32_f16 v142, v143, v142
	s_waitcnt vmcnt(0)
	v_pk_mul_f16 v22, v22, v137 op_sel_hi:[1,0]
	v_pk_mul_f16 v137, v137, v142 op_sel_hi:[0,1]
	v_pk_fma_f16 v21, v23, v22, v21 op_sel_hi:[0,1,1]
	v_pk_fma_f16 v22, v23, v137, v138 op_sel_hi:[0,1,1]
	v_cvt_f16_i16_sdwa v137, sext(v144) dst_sel:DWORD dst_unused:UNUSED_PAD src0_sel:BYTE_0
	v_cvt_f16_i16_sdwa v138, sext(v144) dst_sel:DWORD dst_unused:UNUSED_PAD src0_sel:BYTE_1
	v_pack_b32_f16 v137, v137, v138
	v_lshrrev_b32_e32 v138, 16, v144
	v_cvt_f16_i16_sdwa v142, sext(v138) dst_sel:DWORD dst_unused:UNUSED_PAD src0_sel:BYTE_0
	v_cvt_f16_i16_sdwa v138, sext(v138) dst_sel:DWORD dst_unused:UNUSED_PAD src0_sel:BYTE_1
	v_pack_b32_f16 v138, v142, v138
	v_pk_mul_f16 v137, v137, v136 op_sel_hi:[1,0]
	v_pk_mul_f16 v136, v136, v138 op_sel_hi:[0,1]
	v_pk_fma_f16 v135, v23, v137, v135 op_sel_hi:[0,1,1]
	v_pk_fma_f16 v20, v23, v136, v20 op_sel_hi:[0,1,1]
	v_cvt_f16_i16_sdwa v136, sext(v146) dst_sel:DWORD dst_unused:UNUSED_PAD src0_sel:BYTE_0
	v_cvt_f16_i16_sdwa v137, sext(v146) dst_sel:DWORD dst_unused:UNUSED_PAD src0_sel:BYTE_1
	v_pack_b32_f16 v136, v136, v137
	v_lshrrev_b32_e32 v137, 16, v146
	v_cvt_f16_i16_sdwa v138, sext(v137) dst_sel:DWORD dst_unused:UNUSED_PAD src0_sel:BYTE_0
	v_cvt_f16_i16_sdwa v137, sext(v137) dst_sel:DWORD dst_unused:UNUSED_PAD src0_sel:BYTE_1
	v_pack_b32_f16 v137, v138, v137
	v_pk_mul_f16 v136, v136, v147 op_sel_hi:[1,0]
	v_pk_mul_f16 v137, v147, v137 op_sel_hi:[0,1]
	v_pk_fma_f16 v138, v23, v136, v21 op_sel:[1,0,0]
	v_pk_fma_f16 v146, v23, v137, v22 op_sel:[1,0,0]
	v_lshrrev_b32_e32 v21, 16, v148
	v_cvt_f16_i16_sdwa v22, sext(v148) dst_sel:DWORD dst_unused:UNUSED_PAD src0_sel:BYTE_0
	v_cvt_f16_i16_sdwa v136, sext(v148) dst_sel:DWORD dst_unused:UNUSED_PAD src0_sel:BYTE_1
	v_pack_b32_f16 v22, v22, v136
	v_cvt_f16_i16_sdwa v136, sext(v21) dst_sel:DWORD dst_unused:UNUSED_PAD src0_sel:BYTE_0
	v_cvt_f16_i16_sdwa v21, sext(v21) dst_sel:DWORD dst_unused:UNUSED_PAD src0_sel:BYTE_1
	v_pack_b32_f16 v21, v136, v21
	v_pk_mul_f16 v21, v149, v21 op_sel_hi:[0,1]
	v_pk_fma_f16 v147, v23, v21, v20 op_sel:[1,0,0]
	v_add_co_u32_e32 v20, vcc, s19, v108
	v_pk_mul_f16 v22, v22, v149 op_sel_hi:[1,0]
	v_addc_co_u32_e32 v21, vcc, v140, v81, vcc
	v_pk_fma_f16 v135, v23, v22, v135 op_sel:[1,0,0]
	v_mad_u64_u32 v[22:23], s[12:13], v58, 34, v[20:21]
	v_add_co_u32_e32 v136, vcc, v22, v60
	v_addc_co_u32_e32 v137, vcc, 0, v23, vcc
	v_mad_u64_u32 v[20:21], s[12:13], v50, 34, v[20:21]
	global_load_dword v148, v[136:137], off offset:2
	global_load_ushort v149, v[20:21], off
	v_add_co_u32_e32 v136, vcc, s19, v110
	v_addc_co_u32_e32 v137, vcc, v140, v83, vcc
	v_add_co_u32_e32 v142, vcc, v20, v52
	v_addc_co_u32_e32 v143, vcc, 0, v21, vcc
	v_mad_u64_u32 v[20:21], s[12:13], v50, 34, v[136:137]
	v_add_co_u32_e32 v144, vcc, v20, v52
	v_addc_co_u32_e32 v145, vcc, 0, v21, vcc
	v_mad_u64_u32 v[136:137], s[12:13], v58, 34, v[136:137]
	global_load_dword v150, v[144:145], off offset:2
	v_add_co_u32_e32 v144, vcc, v136, v60
	v_addc_co_u32_e32 v145, vcc, 0, v137, vcc
	global_load_dword v151, v[144:145], off offset:2
	global_load_dword v152, v[142:143], off offset:2
	global_load_ushort v153, v[22:23], off
	global_load_ushort v154, v[20:21], off
	;; [unrolled: 1-line block ×3, first 2 shown]
	v_add_co_u32_e32 v20, vcc, s19, v112
	v_addc_co_u32_e32 v21, vcc, v140, v85, vcc
	v_mad_u64_u32 v[22:23], s[12:13], v58, 34, v[20:21]
	v_add_co_u32_e32 v136, vcc, v22, v60
	v_addc_co_u32_e32 v137, vcc, 0, v23, vcc
	v_mad_u64_u32 v[20:21], s[12:13], v50, 34, v[20:21]
	global_load_dword v156, v[136:137], off offset:2
	global_load_ushort v157, v[20:21], off
	v_add_co_u32_e32 v136, vcc, v20, v52
	v_addc_co_u32_e32 v137, vcc, 0, v21, vcc
	v_add_co_u32_e32 v20, vcc, s19, v114
	v_addc_co_u32_e32 v21, vcc, v140, v87, vcc
	v_mad_u64_u32 v[142:143], s[12:13], v50, 34, v[20:21]
	v_add_co_u32_e32 v144, vcc, v142, v52
	v_addc_co_u32_e32 v145, vcc, 0, v143, vcc
	v_mad_u64_u32 v[20:21], s[12:13], v58, 34, v[20:21]
	global_load_dword v158, v[144:145], off offset:2
	v_add_co_u32_e32 v144, vcc, v20, v60
	v_addc_co_u32_e32 v145, vcc, 0, v21, vcc
	global_load_dword v159, v[144:145], off offset:2
	global_load_dword v160, v[136:137], off offset:2
	s_nop 0
	global_load_ushort v22, v[22:23], off
	s_nop 0
	global_load_ushort v161, v[142:143], off
	global_load_ushort v162, v[20:21], off
	s_waitcnt vmcnt(15)
	v_cvt_f16_i16_sdwa v20, sext(v148) dst_sel:DWORD dst_unused:UNUSED_PAD src0_sel:BYTE_0
	v_cvt_f16_i16_sdwa v21, sext(v148) dst_sel:DWORD dst_unused:UNUSED_PAD src0_sel:BYTE_1
	v_pack_b32_f16 v20, v20, v21
	v_lshrrev_b32_e32 v21, 16, v148
	v_cvt_f16_i16_sdwa v23, sext(v21) dst_sel:DWORD dst_unused:UNUSED_PAD src0_sel:BYTE_0
	v_cvt_f16_i16_sdwa v21, sext(v21) dst_sel:DWORD dst_unused:UNUSED_PAD src0_sel:BYTE_1
	v_pack_b32_f16 v21, v23, v21
	s_waitcnt vmcnt(11)
	v_cvt_f16_i16_sdwa v23, sext(v152) dst_sel:DWORD dst_unused:UNUSED_PAD src0_sel:BYTE_0
	v_cvt_f16_i16_sdwa v136, sext(v152) dst_sel:DWORD dst_unused:UNUSED_PAD src0_sel:BYTE_1
	v_pack_b32_f16 v23, v23, v136
	v_lshrrev_b32_e32 v136, 16, v152
	v_cvt_f16_i16_sdwa v137, sext(v136) dst_sel:DWORD dst_unused:UNUSED_PAD src0_sel:BYTE_0
	v_cvt_f16_i16_sdwa v136, sext(v136) dst_sel:DWORD dst_unused:UNUSED_PAD src0_sel:BYTE_1
	v_pack_b32_f16 v136, v137, v136
	v_pk_mul_f16 v23, v23, v149 op_sel_hi:[1,0]
	v_pk_mul_f16 v136, v149, v136 op_sel_hi:[0,1]
	s_waitcnt lgkmcnt(0)
	v_pk_fma_f16 v23, v16, v23, v135 op_sel_hi:[0,1,1]
	v_pk_fma_f16 v135, v16, v136, v147 op_sel_hi:[0,1,1]
	v_cvt_f16_i16_sdwa v136, sext(v151) dst_sel:DWORD dst_unused:UNUSED_PAD src0_sel:BYTE_0
	v_cvt_f16_i16_sdwa v137, sext(v151) dst_sel:DWORD dst_unused:UNUSED_PAD src0_sel:BYTE_1
	s_waitcnt vmcnt(10)
	v_pk_mul_f16 v20, v20, v153 op_sel_hi:[1,0]
	v_pack_b32_f16 v136, v136, v137
	v_lshrrev_b32_e32 v137, 16, v151
	v_pk_fma_f16 v20, v16, v20, v138 op_sel_hi:[0,1,1]
	v_cvt_f16_i16_sdwa v138, sext(v137) dst_sel:DWORD dst_unused:UNUSED_PAD src0_sel:BYTE_0
	v_cvt_f16_i16_sdwa v137, sext(v137) dst_sel:DWORD dst_unused:UNUSED_PAD src0_sel:BYTE_1
	v_pk_mul_f16 v21, v153, v21 op_sel_hi:[0,1]
	v_pack_b32_f16 v137, v138, v137
	v_pk_fma_f16 v21, v16, v21, v146 op_sel_hi:[0,1,1]
	s_waitcnt vmcnt(8)
	v_pk_mul_f16 v136, v136, v155 op_sel_hi:[1,0]
	v_pk_mul_f16 v137, v155, v137 op_sel_hi:[0,1]
	v_pk_fma_f16 v20, v16, v136, v20 op_sel:[1,0,0]
	v_pk_fma_f16 v21, v16, v137, v21 op_sel:[1,0,0]
	v_cvt_f16_i16_sdwa v136, sext(v150) dst_sel:DWORD dst_unused:UNUSED_PAD src0_sel:BYTE_0
	v_cvt_f16_i16_sdwa v137, sext(v150) dst_sel:DWORD dst_unused:UNUSED_PAD src0_sel:BYTE_1
	v_pack_b32_f16 v136, v136, v137
	v_lshrrev_b32_e32 v137, 16, v150
	v_cvt_f16_i16_sdwa v138, sext(v137) dst_sel:DWORD dst_unused:UNUSED_PAD src0_sel:BYTE_0
	v_cvt_f16_i16_sdwa v137, sext(v137) dst_sel:DWORD dst_unused:UNUSED_PAD src0_sel:BYTE_1
	v_pack_b32_f16 v137, v138, v137
	v_pk_mul_f16 v136, v136, v154 op_sel_hi:[1,0]
	v_pk_mul_f16 v137, v154, v137 op_sel_hi:[0,1]
	v_pk_fma_f16 v138, v16, v136, v23 op_sel:[1,0,0]
	v_pk_fma_f16 v16, v16, v137, v135 op_sel:[1,0,0]
	s_waitcnt vmcnt(7)
	v_cvt_f16_i16_sdwa v23, sext(v156) dst_sel:DWORD dst_unused:UNUSED_PAD src0_sel:BYTE_0
	v_cvt_f16_i16_sdwa v135, sext(v156) dst_sel:DWORD dst_unused:UNUSED_PAD src0_sel:BYTE_1
	v_pack_b32_f16 v23, v23, v135
	v_lshrrev_b32_e32 v135, 16, v156
	v_cvt_f16_i16_sdwa v136, sext(v135) dst_sel:DWORD dst_unused:UNUSED_PAD src0_sel:BYTE_0
	v_cvt_f16_i16_sdwa v135, sext(v135) dst_sel:DWORD dst_unused:UNUSED_PAD src0_sel:BYTE_1
	v_pack_b32_f16 v135, v136, v135
	s_waitcnt vmcnt(2)
	v_pk_mul_f16 v23, v23, v22 op_sel_hi:[1,0]
	v_pk_mul_f16 v22, v22, v135 op_sel_hi:[0,1]
	v_pk_fma_f16 v135, v17, v23, v20 op_sel_hi:[0,1,1]
	v_add_co_u32_e32 v20, vcc, s19, v116
	v_pk_fma_f16 v146, v17, v22, v21 op_sel_hi:[0,1,1]
	v_addc_co_u32_e32 v21, vcc, v140, v89, vcc
	v_mad_u64_u32 v[22:23], s[12:13], v58, 34, v[20:21]
	v_add_co_u32_e32 v136, vcc, v22, v60
	v_addc_co_u32_e32 v137, vcc, 0, v23, vcc
	global_load_dword v147, v[136:137], off offset:2
	v_add_co_u32_e32 v136, vcc, s19, v118
	v_addc_co_u32_e32 v137, vcc, v140, v91, vcc
	v_mad_u64_u32 v[142:143], s[12:13], v50, 34, v[136:137]
	v_add_co_u32_e32 v144, vcc, v142, v52
	v_addc_co_u32_e32 v145, vcc, 0, v143, vcc
	v_mad_u64_u32 v[136:137], s[12:13], v58, 34, v[136:137]
	global_load_dword v148, v[144:145], off offset:2
	global_load_ushort v149, v[142:143], off
	v_add_co_u32_e32 v142, vcc, v136, v60
	v_addc_co_u32_e32 v143, vcc, 0, v137, vcc
	v_mad_u64_u32 v[20:21], s[12:13], v50, 34, v[20:21]
	global_load_dword v150, v[142:143], off offset:2
	global_load_ushort v151, v[136:137], off
	v_add_co_u32_e32 v136, vcc, v20, v52
	v_addc_co_u32_e32 v137, vcc, 0, v21, vcc
	global_load_dword v152, v[136:137], off offset:2
	global_load_ushort v153, v[20:21], off
	global_load_ushort v154, v[22:23], off
	v_add_co_u32_e32 v20, vcc, s19, v120
	v_addc_co_u32_e32 v21, vcc, v140, v93, vcc
	v_mad_u64_u32 v[22:23], s[12:13], v58, 34, v[20:21]
	v_add_co_u32_e32 v136, vcc, v22, v60
	v_addc_co_u32_e32 v137, vcc, 0, v23, vcc
	global_load_dword v155, v[136:137], off offset:2
	v_add_co_u32_e32 v136, vcc, s19, v122
	v_addc_co_u32_e32 v137, vcc, v140, v95, vcc
	v_mad_u64_u32 v[142:143], s[12:13], v50, 34, v[136:137]
	v_add_co_u32_e32 v144, vcc, v142, v52
	v_addc_co_u32_e32 v145, vcc, 0, v143, vcc
	v_mad_u64_u32 v[136:137], s[12:13], v58, 34, v[136:137]
	global_load_dword v140, v[144:145], off offset:2
	s_nop 0
	global_load_ushort v144, v[142:143], off
	v_add_co_u32_e32 v142, vcc, v136, v60
	v_addc_co_u32_e32 v143, vcc, 0, v137, vcc
	v_mad_u64_u32 v[20:21], s[12:13], v50, 34, v[20:21]
	global_load_dword v142, v[142:143], off offset:2
	s_nop 0
	global_load_ushort v143, v[136:137], off
	v_add_co_u32_e32 v136, vcc, v20, v52
	v_addc_co_u32_e32 v137, vcc, 0, v21, vcc
	global_load_dword v136, v[136:137], off offset:2
	s_nop 0
	global_load_ushort v20, v[20:21], off
	s_nop 0
	global_load_ushort v21, v[22:23], off
	v_cvt_f16_i16_sdwa v22, sext(v160) dst_sel:DWORD dst_unused:UNUSED_PAD src0_sel:BYTE_0
	v_cvt_f16_i16_sdwa v23, sext(v160) dst_sel:DWORD dst_unused:UNUSED_PAD src0_sel:BYTE_1
	v_pack_b32_f16 v22, v22, v23
	v_lshrrev_b32_e32 v23, 16, v160
	v_cvt_f16_i16_sdwa v137, sext(v23) dst_sel:DWORD dst_unused:UNUSED_PAD src0_sel:BYTE_0
	v_cvt_f16_i16_sdwa v23, sext(v23) dst_sel:DWORD dst_unused:UNUSED_PAD src0_sel:BYTE_1
	v_pack_b32_f16 v23, v137, v23
	v_pk_mul_f16 v23, v157, v23 op_sel_hi:[0,1]
	v_pk_fma_f16 v16, v17, v23, v16 op_sel_hi:[0,1,1]
	v_cvt_f16_i16_sdwa v23, sext(v159) dst_sel:DWORD dst_unused:UNUSED_PAD src0_sel:BYTE_0
	v_cvt_f16_i16_sdwa v137, sext(v159) dst_sel:DWORD dst_unused:UNUSED_PAD src0_sel:BYTE_1
	v_pk_mul_f16 v22, v22, v157 op_sel_hi:[1,0]
	v_pack_b32_f16 v23, v23, v137
	v_lshrrev_b32_e32 v137, 16, v159
	v_pk_fma_f16 v22, v17, v22, v138 op_sel_hi:[0,1,1]
	v_cvt_f16_i16_sdwa v138, sext(v137) dst_sel:DWORD dst_unused:UNUSED_PAD src0_sel:BYTE_0
	v_cvt_f16_i16_sdwa v137, sext(v137) dst_sel:DWORD dst_unused:UNUSED_PAD src0_sel:BYTE_1
	v_pack_b32_f16 v137, v138, v137
	s_waitcnt vmcnt(16)
	v_pk_mul_f16 v23, v23, v162 op_sel_hi:[1,0]
	v_pk_mul_f16 v137, v162, v137 op_sel_hi:[0,1]
	v_pk_fma_f16 v23, v17, v23, v135 op_sel:[1,0,0]
	v_pk_fma_f16 v135, v17, v137, v146 op_sel:[1,0,0]
	v_cvt_f16_i16_sdwa v137, sext(v158) dst_sel:DWORD dst_unused:UNUSED_PAD src0_sel:BYTE_0
	v_cvt_f16_i16_sdwa v138, sext(v158) dst_sel:DWORD dst_unused:UNUSED_PAD src0_sel:BYTE_1
	v_pack_b32_f16 v137, v137, v138
	v_lshrrev_b32_e32 v138, 16, v158
	v_cvt_f16_i16_sdwa v145, sext(v138) dst_sel:DWORD dst_unused:UNUSED_PAD src0_sel:BYTE_0
	v_cvt_f16_i16_sdwa v138, sext(v138) dst_sel:DWORD dst_unused:UNUSED_PAD src0_sel:BYTE_1
	v_pack_b32_f16 v138, v145, v138
	v_pk_mul_f16 v137, v137, v161 op_sel_hi:[1,0]
	v_pk_mul_f16 v138, v161, v138 op_sel_hi:[0,1]
	v_pk_fma_f16 v22, v17, v137, v22 op_sel:[1,0,0]
	v_pk_fma_f16 v16, v17, v138, v16 op_sel:[1,0,0]
	s_waitcnt vmcnt(15)
	v_cvt_f16_i16_sdwa v17, sext(v147) dst_sel:DWORD dst_unused:UNUSED_PAD src0_sel:BYTE_0
	v_cvt_f16_i16_sdwa v137, sext(v147) dst_sel:DWORD dst_unused:UNUSED_PAD src0_sel:BYTE_1
	v_pack_b32_f16 v17, v17, v137
	v_lshrrev_b32_e32 v137, 16, v147
	v_cvt_f16_i16_sdwa v138, sext(v137) dst_sel:DWORD dst_unused:UNUSED_PAD src0_sel:BYTE_0
	v_cvt_f16_i16_sdwa v137, sext(v137) dst_sel:DWORD dst_unused:UNUSED_PAD src0_sel:BYTE_1
	v_pack_b32_f16 v137, v138, v137
	s_add_u32 s19, s19, s43
	s_addc_u32 s27, s27, 0
	s_lshl_b64 s[12:13], s[36:37], 1
	s_waitcnt vmcnt(8)
	v_pk_mul_f16 v17, v17, v154 op_sel_hi:[1,0]
	v_pk_mul_f16 v137, v154, v137 op_sel_hi:[0,1]
	v_pk_fma_f16 v17, v18, v17, v23 op_sel_hi:[0,1,1]
	v_pk_fma_f16 v23, v18, v137, v135 op_sel_hi:[0,1,1]
	v_cvt_f16_i16_sdwa v135, sext(v152) dst_sel:DWORD dst_unused:UNUSED_PAD src0_sel:BYTE_0
	v_cvt_f16_i16_sdwa v137, sext(v152) dst_sel:DWORD dst_unused:UNUSED_PAD src0_sel:BYTE_1
	v_pack_b32_f16 v135, v135, v137
	v_lshrrev_b32_e32 v137, 16, v152
	v_cvt_f16_i16_sdwa v138, sext(v137) dst_sel:DWORD dst_unused:UNUSED_PAD src0_sel:BYTE_0
	v_cvt_f16_i16_sdwa v137, sext(v137) dst_sel:DWORD dst_unused:UNUSED_PAD src0_sel:BYTE_1
	v_pack_b32_f16 v137, v138, v137
	v_pk_mul_f16 v135, v135, v153 op_sel_hi:[1,0]
	v_pk_mul_f16 v137, v153, v137 op_sel_hi:[0,1]
	v_pk_fma_f16 v22, v18, v135, v22 op_sel_hi:[0,1,1]
	v_pk_fma_f16 v16, v18, v137, v16 op_sel_hi:[0,1,1]
	v_cvt_f16_i16_sdwa v135, sext(v150) dst_sel:DWORD dst_unused:UNUSED_PAD src0_sel:BYTE_0
	v_cvt_f16_i16_sdwa v137, sext(v150) dst_sel:DWORD dst_unused:UNUSED_PAD src0_sel:BYTE_1
	v_pack_b32_f16 v135, v135, v137
	v_lshrrev_b32_e32 v137, 16, v150
	v_cvt_f16_i16_sdwa v138, sext(v137) dst_sel:DWORD dst_unused:UNUSED_PAD src0_sel:BYTE_0
	v_cvt_f16_i16_sdwa v137, sext(v137) dst_sel:DWORD dst_unused:UNUSED_PAD src0_sel:BYTE_1
	v_pack_b32_f16 v137, v138, v137
	v_pk_mul_f16 v135, v135, v151 op_sel_hi:[1,0]
	v_pk_mul_f16 v137, v151, v137 op_sel_hi:[0,1]
	v_pk_fma_f16 v17, v18, v135, v17 op_sel:[1,0,0]
	v_pk_fma_f16 v23, v18, v137, v23 op_sel:[1,0,0]
	v_cvt_f16_i16_sdwa v135, sext(v148) dst_sel:DWORD dst_unused:UNUSED_PAD src0_sel:BYTE_0
	v_cvt_f16_i16_sdwa v137, sext(v148) dst_sel:DWORD dst_unused:UNUSED_PAD src0_sel:BYTE_1
	v_pack_b32_f16 v135, v135, v137
	v_lshrrev_b32_e32 v137, 16, v148
	v_cvt_f16_i16_sdwa v138, sext(v137) dst_sel:DWORD dst_unused:UNUSED_PAD src0_sel:BYTE_0
	v_cvt_f16_i16_sdwa v137, sext(v137) dst_sel:DWORD dst_unused:UNUSED_PAD src0_sel:BYTE_1
	v_pack_b32_f16 v137, v138, v137
	v_pk_mul_f16 v135, v135, v149 op_sel_hi:[1,0]
	v_pk_mul_f16 v137, v149, v137 op_sel_hi:[0,1]
	v_pk_fma_f16 v22, v18, v135, v22 op_sel:[1,0,0]
	v_pk_fma_f16 v16, v18, v137, v16 op_sel:[1,0,0]
	s_waitcnt vmcnt(7)
	v_lshrrev_b32_e32 v18, 16, v155
	v_cvt_f16_i16_sdwa v135, sext(v155) dst_sel:DWORD dst_unused:UNUSED_PAD src0_sel:BYTE_0
	v_cvt_f16_i16_sdwa v137, sext(v155) dst_sel:DWORD dst_unused:UNUSED_PAD src0_sel:BYTE_1
	v_pack_b32_f16 v135, v135, v137
	v_cvt_f16_i16_sdwa v137, sext(v18) dst_sel:DWORD dst_unused:UNUSED_PAD src0_sel:BYTE_0
	v_cvt_f16_i16_sdwa v18, sext(v18) dst_sel:DWORD dst_unused:UNUSED_PAD src0_sel:BYTE_1
	v_pack_b32_f16 v18, v137, v18
	s_waitcnt vmcnt(0)
	v_pk_mul_f16 v135, v135, v21 op_sel_hi:[1,0]
	v_pk_mul_f16 v18, v21, v18 op_sel_hi:[0,1]
	v_pk_fma_f16 v17, v19, v135, v17 op_sel_hi:[0,1,1]
	v_pk_fma_f16 v18, v19, v18, v23 op_sel_hi:[0,1,1]
	v_lshrrev_b32_e32 v21, 16, v136
	v_cvt_f16_i16_sdwa v23, sext(v136) dst_sel:DWORD dst_unused:UNUSED_PAD src0_sel:BYTE_0
	v_cvt_f16_i16_sdwa v135, sext(v136) dst_sel:DWORD dst_unused:UNUSED_PAD src0_sel:BYTE_1
	v_pack_b32_f16 v23, v23, v135
	v_cvt_f16_i16_sdwa v135, sext(v21) dst_sel:DWORD dst_unused:UNUSED_PAD src0_sel:BYTE_0
	v_cvt_f16_i16_sdwa v21, sext(v21) dst_sel:DWORD dst_unused:UNUSED_PAD src0_sel:BYTE_1
	v_pack_b32_f16 v21, v135, v21
	v_pk_mul_f16 v23, v23, v20 op_sel_hi:[1,0]
	v_pk_mul_f16 v20, v20, v21 op_sel_hi:[0,1]
	v_pk_fma_f16 v21, v19, v23, v22 op_sel_hi:[0,1,1]
	v_pk_fma_f16 v16, v19, v20, v16 op_sel_hi:[0,1,1]
	v_lshrrev_b32_e32 v20, 16, v142
	v_cvt_f16_i16_sdwa v22, sext(v142) dst_sel:DWORD dst_unused:UNUSED_PAD src0_sel:BYTE_0
	v_cvt_f16_i16_sdwa v23, sext(v142) dst_sel:DWORD dst_unused:UNUSED_PAD src0_sel:BYTE_1
	v_pack_b32_f16 v22, v22, v23
	v_cvt_f16_i16_sdwa v23, sext(v20) dst_sel:DWORD dst_unused:UNUSED_PAD src0_sel:BYTE_0
	v_cvt_f16_i16_sdwa v20, sext(v20) dst_sel:DWORD dst_unused:UNUSED_PAD src0_sel:BYTE_1
	v_pack_b32_f16 v20, v23, v20
	v_pk_mul_f16 v22, v22, v143 op_sel_hi:[1,0]
	v_pk_mul_f16 v20, v143, v20 op_sel_hi:[0,1]
	v_pk_fma_f16 v135, v19, v22, v17 op_sel:[1,0,0]
	v_pk_fma_f16 v138, v19, v20, v18 op_sel:[1,0,0]
	v_lshrrev_b32_e32 v17, 16, v140
	v_cvt_f16_i16_sdwa v18, sext(v140) dst_sel:DWORD dst_unused:UNUSED_PAD src0_sel:BYTE_0
	v_cvt_f16_i16_sdwa v20, sext(v140) dst_sel:DWORD dst_unused:UNUSED_PAD src0_sel:BYTE_1
	v_pack_b32_f16 v18, v18, v20
	v_cvt_f16_i16_sdwa v20, sext(v17) dst_sel:DWORD dst_unused:UNUSED_PAD src0_sel:BYTE_0
	v_cvt_f16_i16_sdwa v17, sext(v17) dst_sel:DWORD dst_unused:UNUSED_PAD src0_sel:BYTE_1
	v_pack_b32_f16 v17, v20, v17
	s_add_u32 s24, s24, s12
	v_pk_mul_f16 v18, v18, v144 op_sel_hi:[1,0]
	v_pk_mul_f16 v17, v144, v17 op_sel_hi:[0,1]
	s_addc_u32 s25, s25, s13
	v_pk_fma_f16 v137, v19, v18, v21 op_sel:[1,0,0]
	v_pk_fma_f16 v136, v19, v17, v16 op_sel:[1,0,0]
	s_cmp_ge_i32 s18, s34
	s_cbranch_scc1 .LBB23_25
; %bb.24:                               ;   in Loop: Header=BB23_15 Depth=1
	v_mov_b32_e32 v20, v139
	s_branch .LBB23_15
.LBB23_25:
	s_cmp_lg_u64 s[16:17], 0
	v_or_b32_e32 v0, s7, v97
	s_cselect_b64 s[2:3], -1, 0
	v_cmp_eq_u32_e32 vcc, 0, v0
	s_and_b64 s[8:9], vcc, s[2:3]
	s_and_saveexec_b64 s[2:3], s[8:9]
	s_cbranch_execz .LBB23_27
; %bb.26:
	s_lshl_b64 s[8:9], s[30:31], 2
	s_add_u32 s8, s16, s8
	s_addc_u32 s9, s17, s9
	s_load_dword s8, s[8:9], 0x0
	v_max_f32_e32 v0, v139, v139
	s_mov_b32 s9, 0x3fb8aa3b
	s_mov_b32 s10, 0xc2ce8ed0
	;; [unrolled: 1-line block ×3, first 2 shown]
	s_waitcnt lgkmcnt(0)
	v_max_f32_e64 v1, s8, s8
	v_max_f32_e32 v0, v1, v0
	v_sub_f32_e32 v1, v139, v0
	v_mul_f32_e32 v2, 0x3fb8aa3b, v1
	v_fma_f32 v3, v1, s9, -v2
	v_rndne_f32_e32 v4, v2
	v_fmac_f32_e32 v3, 0x32a5705f, v1
	v_sub_f32_e32 v2, v2, v4
	v_add_f32_e32 v2, v2, v3
	v_cvt_i32_f32_e32 v3, v4
	v_exp_f32_e32 v2, v2
	v_cmp_ngt_f32_e32 vcc, s10, v1
	v_mov_b32_e32 v139, v0
	v_ldexp_f32 v2, v2, v3
	v_sub_f32_e32 v3, s8, v0
	v_mul_f32_e32 v4, 0x3fb8aa3b, v3
	v_fma_f32 v5, v3, s9, -v4
	v_rndne_f32_e32 v6, v4
	v_fmac_f32_e32 v5, 0x32a5705f, v3
	v_sub_f32_e32 v4, v4, v6
	v_add_f32_e32 v4, v4, v5
	v_exp_f32_e32 v4, v4
	v_cvt_i32_f32_e32 v5, v6
	v_cndmask_b32_e32 v2, 0, v2, vcc
	v_mov_b32_e32 v6, 0x7f800000
	v_cmp_nlt_f32_e32 vcc, s11, v1
	v_cndmask_b32_e32 v1, v6, v2, vcc
	v_ldexp_f32 v2, v4, v5
	v_cmp_ngt_f32_e32 vcc, s10, v3
	v_cndmask_b32_e32 v2, 0, v2, vcc
	v_cvt_f16_f32_e32 v4, v1
	v_cmp_nlt_f32_e32 vcc, s11, v3
	v_cndmask_b32_e32 v2, v6, v2, vcc
	v_cmp_eq_u32_e32 vcc, 0, v99
	v_cndmask_b32_e32 v2, 0, v2, vcc
	v_fmac_f32_e32 v2, v111, v1
	v_pk_mul_f16 v135, v4, v135 op_sel_hi:[0,1]
	v_pk_mul_f16 v138, v4, v138 op_sel_hi:[0,1]
	v_pk_mul_f16 v137, v4, v137 op_sel_hi:[0,1]
	v_pk_mul_f16 v136, v4, v136 op_sel_hi:[0,1]
	v_mov_b32_e32 v111, v2
.LBB23_27:
	s_or_b64 exec, exec, s[2:3]
	s_and_saveexec_b64 s[2:3], s[0:1]
	s_cbranch_execz .LBB23_29
; %bb.28:
	v_mov_b32_e32 v0, 0xfeffffff
	v_mov_b32_e32 v1, 0
	v_add_u32_e32 v2, 0x800, v109
	ds_write2_b32 v2, v0, v1 offset1:32
.LBB23_29:
	s_or_b64 exec, exec, s[2:3]
	v_cmp_eq_u32_e32 vcc, 0, v99
	v_lshlrev_b32_e32 v4, 2, v97
	s_waitcnt lgkmcnt(0)
	s_barrier
	s_and_saveexec_b64 s[0:1], vcc
	s_cbranch_execz .LBB23_31
; %bb.30:
	ds_write_b32 v4, v139 offset:2048
.LBB23_31:
	s_or_b64 exec, exec, s[0:1]
	v_mbcnt_hi_u32_b32 v3, -1, v101
	s_waitcnt lgkmcnt(0)
	s_barrier
	ds_read_b32 v0, v109 offset:2048
	v_and_b32_e32 v1, 0x60, v3
	v_add_u32_e32 v7, 32, v1
	v_xor_b32_e32 v1, 16, v3
	v_cmp_lt_i32_e64 s[0:1], v1, v7
	v_cndmask_b32_e64 v1, v3, v1, s[0:1]
	v_lshlrev_b32_e32 v6, 2, v1
	s_waitcnt lgkmcnt(0)
	ds_bpermute_b32 v1, v6, v0
	v_max_f32_e32 v0, v0, v0
	s_waitcnt lgkmcnt(0)
	v_max_f32_e32 v1, v1, v1
	v_max_f32_e32 v0, v0, v1
	v_xor_b32_e32 v1, 8, v3
	v_cmp_lt_i32_e64 s[0:1], v1, v7
	v_cndmask_b32_e64 v1, v3, v1, s[0:1]
	v_lshlrev_b32_e32 v5, 2, v1
	ds_bpermute_b32 v1, v5, v0
	s_waitcnt lgkmcnt(0)
	v_max_f32_e32 v1, v1, v1
	v_max_f32_e32 v0, v0, v1
	v_xor_b32_e32 v1, 4, v3
	v_cmp_lt_i32_e64 s[0:1], v1, v7
	v_cndmask_b32_e64 v1, v3, v1, s[0:1]
	v_lshlrev_b32_e32 v1, 2, v1
	ds_bpermute_b32 v2, v1, v0
	s_waitcnt lgkmcnt(0)
	v_max_f32_e32 v2, v2, v2
	v_max_f32_e32 v0, v0, v2
	v_xor_b32_e32 v2, 2, v3
	v_cmp_lt_i32_e64 s[0:1], v2, v7
	v_cndmask_b32_e64 v2, v3, v2, s[0:1]
	v_lshlrev_b32_e32 v2, 2, v2
	ds_bpermute_b32 v8, v2, v0
	s_waitcnt lgkmcnt(0)
	v_max_f32_e32 v8, v8, v8
	v_max_f32_e32 v0, v0, v8
	v_xor_b32_e32 v8, 1, v3
	v_cmp_lt_i32_e64 s[0:1], v8, v7
	v_cndmask_b32_e64 v3, v3, v8, s[0:1]
	v_lshlrev_b32_e32 v3, 2, v3
	ds_bpermute_b32 v7, v3, v0
	s_mov_b32 s0, 0x3fb8aa3b
	s_waitcnt lgkmcnt(0)
	v_max_f32_e32 v7, v7, v7
	v_max_f32_e32 v0, v0, v7
	v_sub_f32_e32 v7, v139, v0
	v_mul_f32_e32 v8, 0x3fb8aa3b, v7
	v_fma_f32 v9, v7, s0, -v8
	v_rndne_f32_e32 v10, v8
	v_fmac_f32_e32 v9, 0x32a5705f, v7
	v_sub_f32_e32 v8, v8, v10
	v_add_f32_e32 v8, v8, v9
	v_exp_f32_e32 v8, v8
	v_cvt_i32_f32_e32 v9, v10
	s_mov_b32 s0, 0xc2ce8ed0
	v_cmp_ngt_f32_e64 s[0:1], s0, v7
	v_ldexp_f32 v8, v8, v9
	v_cndmask_b32_e64 v8, 0, v8, s[0:1]
	s_mov_b32 s0, 0x42b17218
	v_mov_b32_e32 v9, 0x7f800000
	v_cmp_nlt_f32_e64 s[0:1], s0, v7
	v_cndmask_b32_e64 v7, v9, v8, s[0:1]
	v_mul_f32_e32 v8, v111, v7
	ds_bpermute_b32 v8, v6, v8
	v_cvt_f16_f32_e32 v13, v7
	s_waitcnt lgkmcnt(0)
	v_fmac_f32_e32 v8, v111, v7
	ds_bpermute_b32 v9, v5, v8
	v_pk_mul_f16 v10, v13, v135 op_sel_hi:[0,1]
	v_pk_mul_f16 v11, v13, v138 op_sel_hi:[0,1]
	v_pk_mul_f16 v12, v13, v137 op_sel_hi:[0,1]
	v_pk_mul_f16 v13, v13, v136 op_sel_hi:[0,1]
	s_waitcnt lgkmcnt(0)
	v_add_f32_e32 v8, v8, v9
	ds_bpermute_b32 v9, v1, v8
	s_waitcnt lgkmcnt(0)
	v_add_f32_e32 v7, v8, v9
	ds_bpermute_b32 v8, v2, v7
	v_lshlrev_b32_e32 v9, 3, v99
	v_lshl_add_u32 v9, v97, 9, v9
	ds_write2_b64 v9, v[10:11], v[12:13] offset1:32
	s_waitcnt lgkmcnt(1)
	v_add_f32_e32 v7, v7, v8
	ds_bpermute_b32 v8, v3, v7
	s_and_saveexec_b64 s[0:1], vcc
	s_cbranch_execz .LBB23_33
; %bb.32:
	s_waitcnt lgkmcnt(0)
	v_add_f32_e32 v7, v7, v8
	ds_write_b32 v4, v7 offset:2176
.LBB23_33:
	s_or_b64 exec, exec, s[0:1]
	s_waitcnt lgkmcnt(0)
	s_barrier
	ds_read_b32 v4, v109 offset:2176
	s_load_dword s3, s[4:5], 0xd4
	s_mul_i32 s2, s33, s28
	s_waitcnt lgkmcnt(0)
	ds_bpermute_b32 v6, v6, v4
	s_cmp_eq_u32 s3, 1
	s_waitcnt lgkmcnt(0)
	v_add_f32_e32 v4, v4, v6
	ds_bpermute_b32 v5, v5, v4
	ds_read_u16 v6, v107
	ds_read_u16 v7, v107 offset:1792
	ds_read_u16 v8, v107 offset:1536
	;; [unrolled: 1-line block ×3, first 2 shown]
	s_waitcnt lgkmcnt(2)
	v_cvt_f32_f16_e32 v7, v7
	v_add_f32_e32 v4, v4, v5
	ds_bpermute_b32 v1, v1, v4
	ds_read_u16 v5, v107 offset:1024
	ds_read_u16 v10, v107 offset:768
	;; [unrolled: 1-line block ×4, first 2 shown]
	s_waitcnt lgkmcnt(6)
	v_cvt_f32_f16_e32 v8, v8
	s_waitcnt lgkmcnt(3)
	v_cvt_f32_f16_e32 v5, v5
	;; [unrolled: 2-line block ×3, first 2 shown]
	v_add_f32_e32 v1, v4, v1
	ds_bpermute_b32 v2, v2, v1
	v_cvt_f32_f16_e32 v4, v6
	s_waitcnt lgkmcnt(2)
	v_cvt_f32_f16_e32 v6, v11
	v_cvt_f32_f16_e32 v9, v9
	s_waitcnt lgkmcnt(0)
	v_add_f32_e32 v1, v1, v2
	ds_bpermute_b32 v2, v3, v1
	v_add_f32_e32 v3, 0, v4
	v_add_f32_e32 v3, v3, v6
	;; [unrolled: 1-line block ×4, first 2 shown]
	s_waitcnt lgkmcnt(0)
	v_add_f32_e32 v1, v1, v2
	v_div_scale_f32 v2, s[0:1], v1, v1, v3
	v_rcp_f32_e32 v4, v2
	v_div_scale_f32 v5, vcc, v3, v1, v3
	s_cselect_b64 s[0:1], -1, 0
	v_fma_f32 v6, -v2, v4, 1.0
	v_fmac_f32_e32 v4, v6, v4
	v_mul_f32_e32 v6, v5, v4
	v_fma_f32 v8, -v2, v6, v5
	v_fmac_f32_e32 v6, v8, v4
	v_cvt_f32_f16_e32 v8, v12
	s_add_i32 s2, s2, s6
	s_mul_i32 s2, s2, s29
	v_fma_f32 v2, -v2, v6, v5
	v_add_f32_e32 v8, 0, v8
	v_add_f32_e32 v8, v8, v10
	;; [unrolled: 1-line block ×3, first 2 shown]
	s_add_i32 s2, s2, s30
	v_add_f32_e32 v7, v8, v7
	v_div_fmas_f32 v2, v2, v4, v6
	s_mul_i32 s2, s3, s2
	v_div_scale_f32 v8, s[4:5], v1, v1, v7
	v_div_fixup_f32 v2, v2, v1, v3
	s_add_i32 s2, s2, s7
	v_rcp_f32_e32 v9, v8
	v_cndmask_b32_e64 v6, v3, v2, s[0:1]
	v_lshl_or_b32 v2, s2, 8, v105
	v_mov_b32_e32 v3, 0
	v_lshlrev_b64 v[4:5], 2, v[2:3]
	v_mov_b32_e32 v2, s21
	v_add_co_u32_e32 v4, vcc, s20, v4
	v_addc_co_u32_e32 v5, vcc, v2, v5, vcc
	v_fma_f32 v2, -v8, v9, 1.0
	v_fmac_f32_e32 v9, v2, v9
	v_div_scale_f32 v2, vcc, v7, v1, v7
	global_store_dword v[4:5], v6, off
	v_mul_f32_e32 v6, v2, v9
	v_fma_f32 v10, -v8, v6, v2
	v_fmac_f32_e32 v6, v10, v9
	v_fma_f32 v2, -v8, v6, v2
	v_div_fmas_f32 v2, v2, v9, v6
	v_div_fixup_f32 v2, v2, v1, v7
	s_cmp_lg_u32 s3, 1
	v_cndmask_b32_e64 v2, v7, v2, s[0:1]
	s_cselect_b64 s[0:1], -1, 0
	v_cmp_eq_u32_e32 vcc, 0, v105
	s_and_b64 s[0:1], vcc, s[0:1]
	global_store_dword v[4:5], v2, off offset:512
	s_and_saveexec_b64 s[4:5], s[0:1]
	s_cbranch_execz .LBB23_35
; %bb.34:
	s_mov_b32 s3, 0
	s_lshl_b64 s[0:1], s[2:3], 3
	s_add_u32 s0, s22, s0
	s_addc_u32 s1, s23, s1
	global_store_dwordx2 v3, v[0:1], s[0:1]
.LBB23_35:
	s_endpgm
	.section	.rodata,"a",@progbits
	.p2align	6, 0x0
	.amdhsa_kernel _ZL18flash_attn_ext_vecILi256ELi1EL9ggml_type6ELS0_8ELb0EEvPKcS2_S2_S2_S2_PKiPfP15HIP_vector_typeIfLj2EEffffjfiS6_IjLj3EEiiiiiiiiiiiliiliiiiil
		.amdhsa_group_segment_fixed_size 2304
		.amdhsa_private_segment_fixed_size 0
		.amdhsa_kernarg_size 464
		.amdhsa_user_sgpr_count 6
		.amdhsa_user_sgpr_private_segment_buffer 1
		.amdhsa_user_sgpr_dispatch_ptr 0
		.amdhsa_user_sgpr_queue_ptr 0
		.amdhsa_user_sgpr_kernarg_segment_ptr 1
		.amdhsa_user_sgpr_dispatch_id 0
		.amdhsa_user_sgpr_flat_scratch_init 0
		.amdhsa_user_sgpr_kernarg_preload_length 0
		.amdhsa_user_sgpr_kernarg_preload_offset 0
		.amdhsa_user_sgpr_private_segment_size 0
		.amdhsa_uses_dynamic_stack 0
		.amdhsa_system_sgpr_private_segment_wavefront_offset 0
		.amdhsa_system_sgpr_workgroup_id_x 1
		.amdhsa_system_sgpr_workgroup_id_y 1
		.amdhsa_system_sgpr_workgroup_id_z 1
		.amdhsa_system_sgpr_workgroup_info 0
		.amdhsa_system_vgpr_workitem_id 1
		.amdhsa_next_free_vgpr 167
		.amdhsa_next_free_sgpr 52
		.amdhsa_accum_offset 168
		.amdhsa_reserve_vcc 1
		.amdhsa_reserve_flat_scratch 0
		.amdhsa_float_round_mode_32 0
		.amdhsa_float_round_mode_16_64 0
		.amdhsa_float_denorm_mode_32 3
		.amdhsa_float_denorm_mode_16_64 3
		.amdhsa_dx10_clamp 1
		.amdhsa_ieee_mode 1
		.amdhsa_fp16_overflow 0
		.amdhsa_tg_split 0
		.amdhsa_exception_fp_ieee_invalid_op 0
		.amdhsa_exception_fp_denorm_src 0
		.amdhsa_exception_fp_ieee_div_zero 0
		.amdhsa_exception_fp_ieee_overflow 0
		.amdhsa_exception_fp_ieee_underflow 0
		.amdhsa_exception_fp_ieee_inexact 0
		.amdhsa_exception_int_div_zero 0
	.end_amdhsa_kernel
	.section	.text._ZL18flash_attn_ext_vecILi256ELi1EL9ggml_type6ELS0_8ELb0EEvPKcS2_S2_S2_S2_PKiPfP15HIP_vector_typeIfLj2EEffffjfiS6_IjLj3EEiiiiiiiiiiiliiliiiiil,"axG",@progbits,_ZL18flash_attn_ext_vecILi256ELi1EL9ggml_type6ELS0_8ELb0EEvPKcS2_S2_S2_S2_PKiPfP15HIP_vector_typeIfLj2EEffffjfiS6_IjLj3EEiiiiiiiiiiiliiliiiiil,comdat
.Lfunc_end23:
	.size	_ZL18flash_attn_ext_vecILi256ELi1EL9ggml_type6ELS0_8ELb0EEvPKcS2_S2_S2_S2_PKiPfP15HIP_vector_typeIfLj2EEffffjfiS6_IjLj3EEiiiiiiiiiiiliiliiiiil, .Lfunc_end23-_ZL18flash_attn_ext_vecILi256ELi1EL9ggml_type6ELS0_8ELb0EEvPKcS2_S2_S2_S2_PKiPfP15HIP_vector_typeIfLj2EEffffjfiS6_IjLj3EEiiiiiiiiiiiliiliiiiil
                                        ; -- End function
	.section	.AMDGPU.csdata,"",@progbits
; Kernel info:
; codeLenInByte = 22612
; NumSgprs: 56
; NumVgprs: 167
; NumAgprs: 0
; TotalNumVgprs: 167
; ScratchSize: 0
; MemoryBound: 0
; FloatMode: 240
; IeeeMode: 1
; LDSByteSize: 2304 bytes/workgroup (compile time only)
; SGPRBlocks: 6
; VGPRBlocks: 20
; NumSGPRsForWavesPerEU: 56
; NumVGPRsForWavesPerEU: 167
; AccumOffset: 168
; Occupancy: 3
; WaveLimiterHint : 0
; COMPUTE_PGM_RSRC2:SCRATCH_EN: 0
; COMPUTE_PGM_RSRC2:USER_SGPR: 6
; COMPUTE_PGM_RSRC2:TRAP_HANDLER: 0
; COMPUTE_PGM_RSRC2:TGID_X_EN: 1
; COMPUTE_PGM_RSRC2:TGID_Y_EN: 1
; COMPUTE_PGM_RSRC2:TGID_Z_EN: 1
; COMPUTE_PGM_RSRC2:TIDIG_COMP_CNT: 1
; COMPUTE_PGM_RSRC3_GFX90A:ACCUM_OFFSET: 41
; COMPUTE_PGM_RSRC3_GFX90A:TG_SPLIT: 0
	.section	.text._ZL33flash_attn_stream_k_fixup_uniformILi256ELi1ELi1EEvPfPK15HIP_vector_typeIfLj2EEiiiiiiS1_IjLj3EES5_S5_,"axG",@progbits,_ZL33flash_attn_stream_k_fixup_uniformILi256ELi1ELi1EEvPfPK15HIP_vector_typeIfLj2EEiiiiiiS1_IjLj3EES5_S5_,comdat
	.globl	_ZL33flash_attn_stream_k_fixup_uniformILi256ELi1ELi1EEvPfPK15HIP_vector_typeIfLj2EEiiiiiiS1_IjLj3EES5_S5_ ; -- Begin function _ZL33flash_attn_stream_k_fixup_uniformILi256ELi1ELi1EEvPfPK15HIP_vector_typeIfLj2EEiiiiiiS1_IjLj3EES5_S5_
	.p2align	8
	.type	_ZL33flash_attn_stream_k_fixup_uniformILi256ELi1ELi1EEvPfPK15HIP_vector_typeIfLj2EEiiiiiiS1_IjLj3EES5_S5_,@function
_ZL33flash_attn_stream_k_fixup_uniformILi256ELi1ELi1EEvPfPK15HIP_vector_typeIfLj2EEiiiiiiS1_IjLj3EES5_S5_: ; @_ZL33flash_attn_stream_k_fixup_uniformILi256ELi1ELi1EEvPfPK15HIP_vector_typeIfLj2EEiiiiiiS1_IjLj3EES5_S5_
; %bb.0:
	s_load_dwordx8 s[12:19], s[4:5], 0x1c
	s_load_dwordx2 s[10:11], s[4:5], 0x10
	s_load_dwordx4 s[0:3], s[4:5], 0x3c
	s_waitcnt lgkmcnt(0)
	s_mul_hi_u32 s9, s15, s6
	s_add_i32 s9, s6, s9
	s_lshr_b32 s9, s9, s16
	s_mul_i32 s15, s9, s17
	s_sub_i32 s16, s6, s15
	s_mul_hi_u32 s15, s16, s18
	s_add_i32 s15, s16, s15
	s_lshr_b32 s15, s15, s19
	s_mul_i32 s0, s15, s0
	s_sub_i32 s0, s16, s0
	;; [unrolled: 5-line block ×3, first 2 shown]
	s_add_i32 s16, s16, s7
	s_cmp_lt_i32 s16, s10
	s_cselect_b64 s[0:1], -1, 0
	s_add_i32 s17, s17, s8
	s_cmp_lt_i32 s17, s13
	s_cselect_b64 s[2:3], -1, 0
	s_and_b64 s[0:1], s[0:1], s[2:3]
	s_andn2_b64 vcc, exec, s[0:1]
	s_cbranch_vccnz .LBB24_6
; %bb.1:
	s_mul_i32 s9, s9, s10
	s_load_dwordx4 s[0:3], s[4:5], 0x0
	s_mul_i32 s15, s15, s13
	s_add_i32 s4, s16, s9
	s_mul_i32 s4, s4, s11
	s_add_i32 s5, s17, s15
	s_add_i32 s5, s5, s4
	v_lshl_or_b32 v2, s5, 8, v0
	v_ashrrev_i32_e32 v3, 31, v2
	v_lshlrev_b64 v[2:3], 2, v[2:3]
	s_waitcnt lgkmcnt(0)
	v_mov_b32_e32 v1, s1
	v_add_co_u32_e32 v2, vcc, s0, v2
	v_addc_co_u32_e32 v3, vcc, v1, v3, vcc
	global_load_dword v8, v[2:3], off
	s_mul_i32 s4, s6, s14
	s_add_i32 s7, s7, s8
	s_add_i32 s6, s4, s14
	;; [unrolled: 1-line block ×3, first 2 shown]
	s_add_i32 s0, s8, -1
	s_ashr_i32 s1, s0, 31
	s_lshl_b64 s[0:1], s[0:1], 3
	s_add_u32 s0, s2, s0
	s_addc_u32 s1, s3, s1
	s_load_dword s9, s[0:1], 0x4
	s_add_i32 s5, s6, -2
	s_cmp_lt_i32 s5, s4
	s_cbranch_scc1 .LBB24_4
; %bb.2:
	s_lshl_b32 s10, s12, 2
	s_load_dword s0, s[0:1], 0x0
	s_ashr_i32 s11, s10, 31
	s_lshl_b64 s[10:11], s[10:11], 2
	s_add_u32 s5, s2, s10
	s_addc_u32 s10, s3, s11
	v_lshl_or_b32 v0, s8, 8, v0
	s_add_i32 s6, s6, -1
	s_add_i32 s7, s7, s12
	v_add_u32_e32 v0, 0xfffffe00, v0
	s_waitcnt lgkmcnt(0)
	v_mov_b32_e32 v7, s9
	v_mov_b32_e32 v6, s0
	;; [unrolled: 1-line block ×3, first 2 shown]
	s_mov_b32 s8, 0x3fb8aa3b
	s_mov_b32 s9, 0xc2ce8ed0
	;; [unrolled: 1-line block ×3, first 2 shown]
	v_mov_b32_e32 v5, 0x7f800000
	s_mov_b32 s11, 0xc1a00000
.LBB24_3:                               ; =>This Inner Loop Header: Depth=1
	v_ashrrev_i32_e32 v1, 31, v0
	v_lshlrev_b64 v[10:11], 2, v[0:1]
	v_add_co_u32_e32 v10, vcc, s5, v10
	v_addc_co_u32_e32 v11, vcc, v4, v11, vcc
	global_load_dword v1, v[10:11], off
	s_add_i32 s6, s6, -1
	s_add_i32 s0, s6, s7
	s_ashr_i32 s1, s0, 31
	s_lshl_b64 s[0:1], s[0:1], 3
	s_add_u32 s0, s2, s0
	s_addc_u32 s1, s3, s1
	s_load_dwordx2 s[12:13], s[0:1], 0x0
	s_waitcnt vmcnt(1)
	v_mov_b32_e32 v9, v8
	v_max_f32_e32 v8, v6, v6
	v_mov_b32_e32 v10, v7
	v_add_u32_e32 v0, 0xffffff00, v0
	s_waitcnt lgkmcnt(0)
	v_max_f32_e64 v7, s12, s12
	v_max_f32_e32 v7, v8, v7
	v_sub_f32_e32 v11, s12, v7
	v_sub_f32_e32 v8, v6, v7
	v_mul_f32_e32 v12, 0x3fb8aa3b, v11
	v_mov_b32_e32 v6, v7
	v_mul_f32_e32 v7, 0x3fb8aa3b, v8
	v_fma_f32 v15, v11, s8, -v12
	v_rndne_f32_e32 v16, v12
	v_fma_f32 v13, v8, s8, -v7
	v_rndne_f32_e32 v14, v7
	v_fmac_f32_e32 v15, 0x32a5705f, v11
	v_sub_f32_e32 v12, v12, v16
	v_fmac_f32_e32 v13, 0x32a5705f, v8
	v_sub_f32_e32 v7, v7, v14
	v_add_f32_e32 v12, v12, v15
	v_cvt_i32_f32_e32 v16, v16
	v_add_f32_e32 v7, v7, v13
	v_exp_f32_e32 v12, v12
	v_cvt_i32_f32_e32 v14, v14
	v_exp_f32_e32 v7, v7
	v_cmp_ngt_f32_e32 vcc, s9, v11
	v_ldexp_f32 v12, v12, v16
	v_cmp_ngt_f32_e64 s[0:1], s9, v8
	v_ldexp_f32 v7, v7, v14
	v_cndmask_b32_e32 v12, 0, v12, vcc
	v_cmp_nlt_f32_e32 vcc, s10, v11
	v_cndmask_b32_e64 v7, 0, v7, s[0:1]
	v_cmp_nlt_f32_e64 s[0:1], s10, v8
	v_cndmask_b32_e32 v12, v5, v12, vcc
	v_cmp_le_f32_e32 vcc, s11, v11
	v_cndmask_b32_e64 v7, v5, v7, s[0:1]
	v_cmp_le_f32_e64 s[0:1], s11, v8
	v_cndmask_b32_e32 v8, 0, v12, vcc
	v_cndmask_b32_e64 v11, 0, v7, s[0:1]
	v_mul_f32_e32 v7, s13, v8
	s_cmp_le_i32 s6, s4
	v_fmac_f32_e32 v7, v10, v11
	s_waitcnt vmcnt(0)
	v_mul_f32_e32 v8, v1, v8
	v_fmac_f32_e32 v8, v9, v11
	s_cbranch_scc0 .LBB24_3
	s_branch .LBB24_5
.LBB24_4:
	s_waitcnt lgkmcnt(0)
	v_mov_b32_e32 v7, s9
.LBB24_5:
	s_waitcnt vmcnt(0)
	v_div_scale_f32 v0, s[0:1], v7, v7, v8
	v_rcp_f32_e32 v1, v0
	v_div_scale_f32 v4, vcc, v8, v7, v8
	v_fma_f32 v5, -v0, v1, 1.0
	v_fmac_f32_e32 v1, v5, v1
	v_mul_f32_e32 v5, v4, v1
	v_fma_f32 v6, -v0, v5, v4
	v_fmac_f32_e32 v5, v6, v1
	v_fma_f32 v0, -v0, v5, v4
	v_div_fmas_f32 v0, v0, v1, v5
	v_div_fixup_f32 v0, v0, v7, v8
	global_store_dword v[2:3], v0, off
.LBB24_6:
	s_endpgm
	.section	.rodata,"a",@progbits
	.p2align	6, 0x0
	.amdhsa_kernel _ZL33flash_attn_stream_k_fixup_uniformILi256ELi1ELi1EEvPfPK15HIP_vector_typeIfLj2EEiiiiiiS1_IjLj3EES5_S5_
		.amdhsa_group_segment_fixed_size 0
		.amdhsa_private_segment_fixed_size 0
		.amdhsa_kernarg_size 76
		.amdhsa_user_sgpr_count 6
		.amdhsa_user_sgpr_private_segment_buffer 1
		.amdhsa_user_sgpr_dispatch_ptr 0
		.amdhsa_user_sgpr_queue_ptr 0
		.amdhsa_user_sgpr_kernarg_segment_ptr 1
		.amdhsa_user_sgpr_dispatch_id 0
		.amdhsa_user_sgpr_flat_scratch_init 0
		.amdhsa_user_sgpr_kernarg_preload_length 0
		.amdhsa_user_sgpr_kernarg_preload_offset 0
		.amdhsa_user_sgpr_private_segment_size 0
		.amdhsa_uses_dynamic_stack 0
		.amdhsa_system_sgpr_private_segment_wavefront_offset 0
		.amdhsa_system_sgpr_workgroup_id_x 1
		.amdhsa_system_sgpr_workgroup_id_y 1
		.amdhsa_system_sgpr_workgroup_id_z 1
		.amdhsa_system_sgpr_workgroup_info 0
		.amdhsa_system_vgpr_workitem_id 0
		.amdhsa_next_free_vgpr 17
		.amdhsa_next_free_sgpr 20
		.amdhsa_accum_offset 20
		.amdhsa_reserve_vcc 1
		.amdhsa_reserve_flat_scratch 0
		.amdhsa_float_round_mode_32 0
		.amdhsa_float_round_mode_16_64 0
		.amdhsa_float_denorm_mode_32 3
		.amdhsa_float_denorm_mode_16_64 3
		.amdhsa_dx10_clamp 1
		.amdhsa_ieee_mode 1
		.amdhsa_fp16_overflow 0
		.amdhsa_tg_split 0
		.amdhsa_exception_fp_ieee_invalid_op 0
		.amdhsa_exception_fp_denorm_src 0
		.amdhsa_exception_fp_ieee_div_zero 0
		.amdhsa_exception_fp_ieee_overflow 0
		.amdhsa_exception_fp_ieee_underflow 0
		.amdhsa_exception_fp_ieee_inexact 0
		.amdhsa_exception_int_div_zero 0
	.end_amdhsa_kernel
	.section	.text._ZL33flash_attn_stream_k_fixup_uniformILi256ELi1ELi1EEvPfPK15HIP_vector_typeIfLj2EEiiiiiiS1_IjLj3EES5_S5_,"axG",@progbits,_ZL33flash_attn_stream_k_fixup_uniformILi256ELi1ELi1EEvPfPK15HIP_vector_typeIfLj2EEiiiiiiS1_IjLj3EES5_S5_,comdat
.Lfunc_end24:
	.size	_ZL33flash_attn_stream_k_fixup_uniformILi256ELi1ELi1EEvPfPK15HIP_vector_typeIfLj2EEiiiiiiS1_IjLj3EES5_S5_, .Lfunc_end24-_ZL33flash_attn_stream_k_fixup_uniformILi256ELi1ELi1EEvPfPK15HIP_vector_typeIfLj2EEiiiiiiS1_IjLj3EES5_S5_
                                        ; -- End function
	.section	.AMDGPU.csdata,"",@progbits
; Kernel info:
; codeLenInByte = 780
; NumSgprs: 24
; NumVgprs: 17
; NumAgprs: 0
; TotalNumVgprs: 17
; ScratchSize: 0
; MemoryBound: 0
; FloatMode: 240
; IeeeMode: 1
; LDSByteSize: 0 bytes/workgroup (compile time only)
; SGPRBlocks: 2
; VGPRBlocks: 2
; NumSGPRsForWavesPerEU: 24
; NumVGPRsForWavesPerEU: 17
; AccumOffset: 20
; Occupancy: 8
; WaveLimiterHint : 0
; COMPUTE_PGM_RSRC2:SCRATCH_EN: 0
; COMPUTE_PGM_RSRC2:USER_SGPR: 6
; COMPUTE_PGM_RSRC2:TRAP_HANDLER: 0
; COMPUTE_PGM_RSRC2:TGID_X_EN: 1
; COMPUTE_PGM_RSRC2:TGID_Y_EN: 1
; COMPUTE_PGM_RSRC2:TGID_Z_EN: 1
; COMPUTE_PGM_RSRC2:TIDIG_COMP_CNT: 0
; COMPUTE_PGM_RSRC3_GFX90A:ACCUM_OFFSET: 4
; COMPUTE_PGM_RSRC3_GFX90A:TG_SPLIT: 0
	.section	.text._ZL33flash_attn_stream_k_fixup_generalILi256ELi1ELi1EEvPfPK15HIP_vector_typeIfLj2EEiiiiS1_IjLj3EES5_S5_S5_,"axG",@progbits,_ZL33flash_attn_stream_k_fixup_generalILi256ELi1ELi1EEvPfPK15HIP_vector_typeIfLj2EEiiiiS1_IjLj3EES5_S5_S5_,comdat
	.globl	_ZL33flash_attn_stream_k_fixup_generalILi256ELi1ELi1EEvPfPK15HIP_vector_typeIfLj2EEiiiiS1_IjLj3EES5_S5_S5_ ; -- Begin function _ZL33flash_attn_stream_k_fixup_generalILi256ELi1ELi1EEvPfPK15HIP_vector_typeIfLj2EEiiiiS1_IjLj3EES5_S5_S5_
	.p2align	8
	.type	_ZL33flash_attn_stream_k_fixup_generalILi256ELi1ELi1EEvPfPK15HIP_vector_typeIfLj2EEiiiiS1_IjLj3EES5_S5_S5_,@function
_ZL33flash_attn_stream_k_fixup_generalILi256ELi1ELi1EEvPfPK15HIP_vector_typeIfLj2EEiiiiS1_IjLj3EES5_S5_S5_: ; @_ZL33flash_attn_stream_k_fixup_generalILi256ELi1ELi1EEvPfPK15HIP_vector_typeIfLj2EEiiiiS1_IjLj3EES5_S5_S5_
; %bb.0:
	s_load_dwordx4 s[12:15], s[4:5], 0x10
	s_load_dword s9, s[4:5], 0x50
	s_mov_b32 s2, 0
	s_waitcnt lgkmcnt(0)
	s_mul_hi_i32 s3, s15, s6
	s_cmp_lg_u64 s[2:3], 0
	s_mul_i32 s2, s15, s6
	s_cbranch_scc0 .LBB25_21
; %bb.1:
	v_cvt_f32_u32_e32 v1, s9
	v_cvt_f32_ubyte0_e32 v2, 0
	s_sub_u32 s10, 0, s9
	s_subb_u32 s11, 0, 0
	v_madmk_f32 v1, v2, 0x4f800000, v1
	v_rcp_f32_e32 v1, v1
	v_mul_f32_e32 v1, 0x5f7ffffc, v1
	v_mul_f32_e32 v2, 0x2f800000, v1
	v_trunc_f32_e32 v2, v2
	v_madmk_f32 v1, v2, 0xcf800000, v1
	v_cvt_u32_f32_e32 v2, v2
	v_cvt_u32_f32_e32 v1, v1
	v_readfirstlane_b32 s16, v2
	v_readfirstlane_b32 s17, v1
	s_mul_i32 s18, s10, s16
	s_mul_hi_u32 s20, s10, s17
	s_mul_i32 s19, s11, s17
	s_add_i32 s18, s20, s18
	s_add_i32 s18, s18, s19
	s_mul_i32 s21, s10, s17
	s_mul_hi_u32 s19, s17, s18
	s_mul_i32 s20, s17, s18
	s_mul_hi_u32 s17, s17, s21
	s_add_u32 s17, s17, s20
	s_addc_u32 s19, 0, s19
	s_mul_hi_u32 s22, s16, s21
	s_mul_i32 s21, s16, s21
	s_add_u32 s17, s17, s21
	s_mul_hi_u32 s20, s16, s18
	s_addc_u32 s17, s19, s22
	s_addc_u32 s19, s20, 0
	s_mul_i32 s18, s16, s18
	s_add_u32 s17, s17, s18
	s_addc_u32 s18, 0, s19
	v_add_co_u32_e32 v1, vcc, s17, v1
	s_cmp_lg_u64 vcc, 0
	s_addc_u32 s16, s16, s18
	v_readfirstlane_b32 s18, v1
	s_mul_i32 s17, s10, s16
	s_mul_hi_u32 s19, s10, s18
	s_add_i32 s17, s19, s17
	s_mul_i32 s11, s11, s18
	s_add_i32 s17, s17, s11
	s_mul_i32 s10, s10, s18
	s_mul_hi_u32 s19, s16, s10
	s_mul_i32 s20, s16, s10
	s_mul_i32 s22, s18, s17
	s_mul_hi_u32 s10, s18, s10
	s_mul_hi_u32 s21, s18, s17
	s_add_u32 s10, s10, s22
	s_addc_u32 s18, 0, s21
	s_add_u32 s10, s10, s20
	s_mul_hi_u32 s11, s16, s17
	s_addc_u32 s10, s18, s19
	s_addc_u32 s11, s11, 0
	s_mul_i32 s17, s16, s17
	s_add_u32 s10, s10, s17
	s_addc_u32 s11, 0, s11
	v_add_co_u32_e32 v1, vcc, s10, v1
	s_cmp_lg_u64 vcc, 0
	s_addc_u32 s18, s16, s11
	s_ashr_i32 s10, s3, 31
	s_add_u32 s16, s2, s10
	s_mov_b32 s11, s10
	s_addc_u32 s17, s3, s10
	s_xor_b64 s[16:17], s[16:17], s[10:11]
	v_readfirstlane_b32 s20, v1
	s_mul_i32 s19, s16, s18
	s_mul_hi_u32 s21, s16, s20
	s_mul_hi_u32 s3, s16, s18
	s_add_u32 s19, s21, s19
	s_addc_u32 s3, 0, s3
	s_mul_hi_u32 s22, s17, s20
	s_mul_i32 s20, s17, s20
	s_add_u32 s19, s19, s20
	s_mul_hi_u32 s21, s17, s18
	s_addc_u32 s3, s3, s22
	s_addc_u32 s19, s21, 0
	s_mul_i32 s18, s17, s18
	s_add_u32 s3, s3, s18
	s_addc_u32 s18, 0, s19
	s_add_u32 s19, s3, 1
	s_addc_u32 s20, s18, 0
	s_add_u32 s21, s3, 2
	s_mul_i32 s23, s9, s18
	s_mul_hi_u32 s24, s9, s3
	s_addc_u32 s22, s18, 0
	s_add_i32 s24, s24, s23
	s_mul_i32 s23, s9, s3
	v_mov_b32_e32 v1, s23
	v_sub_co_u32_e32 v1, vcc, s16, v1
	s_cmp_lg_u64 vcc, 0
	s_subb_u32 s16, s17, s24
	v_subrev_co_u32_e32 v2, vcc, s9, v1
	s_cmp_lg_u64 vcc, 0
	s_subb_u32 s17, s16, 0
	v_readfirstlane_b32 s23, v2
	s_cmp_ge_u32 s23, s9
	s_cselect_b32 s23, -1, 0
	s_cmp_eq_u32 s17, 0
	s_cselect_b32 s17, s23, -1
	s_cmp_lg_u32 s17, 0
	s_cselect_b32 s17, s22, s20
	v_readfirstlane_b32 s20, v1
	s_cselect_b32 s19, s21, s19
	s_cmp_ge_u32 s20, s9
	s_cselect_b32 s20, -1, 0
	s_cmp_eq_u32 s16, 0
	s_cselect_b32 s16, s20, -1
	s_cmp_lg_u32 s16, 0
	s_cselect_b32 s17, s17, s18
	s_cselect_b32 s16, s19, s3
	s_xor_b64 s[16:17], s[16:17], s[10:11]
	s_sub_u32 s20, s16, s10
	s_load_dwordx4 s[16:19], s[4:5], 0x44
	s_cbranch_execnz .LBB25_3
.LBB25_2:
	v_cvt_f32_u32_e32 v1, s9
	s_sub_i32 s0, 0, s9
	v_rcp_iflag_f32_e32 v1, v1
	v_mul_f32_e32 v1, 0x4f7ffffe, v1
	v_cvt_u32_f32_e32 v1, v1
	v_readfirstlane_b32 s1, v1
	s_mul_i32 s0, s0, s1
	s_mul_hi_u32 s0, s1, s0
	s_add_i32 s1, s1, s0
	s_mul_hi_u32 s0, s2, s1
	s_mul_i32 s3, s0, s9
	s_sub_i32 s2, s2, s3
	s_add_i32 s1, s0, 1
	s_sub_i32 s3, s2, s9
	s_cmp_ge_u32 s2, s9
	s_cselect_b32 s0, s1, s0
	s_cselect_b32 s2, s3, s2
	s_add_i32 s1, s0, 1
	s_cmp_ge_u32 s2, s9
	s_cselect_b32 s20, s1, s0
.LBB25_3:
	s_add_i32 s0, s6, 1
	s_mul_hi_i32 s3, s15, s0
	s_mov_b32 s2, 0
	s_cmp_lg_u64 s[2:3], 0
	s_mul_i32 s2, s15, s0
	s_cbranch_scc0 .LBB25_22
; %bb.4:
	v_cvt_f32_u32_e32 v1, s9
	v_cvt_f32_ubyte0_e32 v2, 0
	s_sub_u32 s10, 0, s9
	s_subb_u32 s11, 0, 0
	v_madmk_f32 v1, v2, 0x4f800000, v1
	v_rcp_f32_e32 v1, v1
	v_mul_f32_e32 v1, 0x5f7ffffc, v1
	v_mul_f32_e32 v2, 0x2f800000, v1
	v_trunc_f32_e32 v2, v2
	v_madmk_f32 v1, v2, 0xcf800000, v1
	v_cvt_u32_f32_e32 v2, v2
	v_cvt_u32_f32_e32 v1, v1
	s_waitcnt lgkmcnt(0)
	v_readfirstlane_b32 s19, v2
	v_readfirstlane_b32 s21, v1
	s_mul_i32 s22, s10, s19
	s_mul_hi_u32 s24, s10, s21
	s_mul_i32 s23, s11, s21
	s_add_i32 s22, s24, s22
	s_add_i32 s22, s22, s23
	s_mul_i32 s25, s10, s21
	s_mul_hi_u32 s23, s21, s22
	s_mul_i32 s24, s21, s22
	s_mul_hi_u32 s21, s21, s25
	s_add_u32 s21, s21, s24
	s_addc_u32 s23, 0, s23
	s_mul_hi_u32 s26, s19, s25
	s_mul_i32 s25, s19, s25
	s_add_u32 s21, s21, s25
	s_mul_hi_u32 s24, s19, s22
	s_addc_u32 s21, s23, s26
	s_addc_u32 s23, s24, 0
	s_mul_i32 s22, s19, s22
	s_add_u32 s21, s21, s22
	s_addc_u32 s22, 0, s23
	v_add_co_u32_e32 v1, vcc, s21, v1
	s_cmp_lg_u64 vcc, 0
	s_addc_u32 s19, s19, s22
	v_readfirstlane_b32 s22, v1
	s_mul_i32 s21, s10, s19
	s_mul_hi_u32 s23, s10, s22
	s_add_i32 s21, s23, s21
	s_mul_i32 s11, s11, s22
	s_add_i32 s21, s21, s11
	s_mul_i32 s10, s10, s22
	s_mul_hi_u32 s23, s19, s10
	s_mul_i32 s24, s19, s10
	s_mul_i32 s26, s22, s21
	s_mul_hi_u32 s10, s22, s10
	s_mul_hi_u32 s25, s22, s21
	s_add_u32 s10, s10, s26
	s_addc_u32 s22, 0, s25
	s_add_u32 s10, s10, s24
	s_mul_hi_u32 s11, s19, s21
	s_addc_u32 s10, s22, s23
	s_addc_u32 s11, s11, 0
	s_mul_i32 s21, s19, s21
	s_add_u32 s10, s10, s21
	s_addc_u32 s11, 0, s11
	v_add_co_u32_e32 v1, vcc, s10, v1
	s_cmp_lg_u64 vcc, 0
	s_addc_u32 s19, s19, s11
	s_ashr_i32 s10, s3, 31
	s_add_u32 s22, s2, s10
	s_mov_b32 s11, s10
	s_addc_u32 s23, s3, s10
	s_xor_b64 s[22:23], s[22:23], s[10:11]
	v_readfirstlane_b32 s21, v1
	s_mul_i32 s11, s22, s19
	s_mul_hi_u32 s24, s22, s21
	s_mul_hi_u32 s3, s22, s19
	s_add_u32 s11, s24, s11
	s_addc_u32 s3, 0, s3
	s_mul_hi_u32 s25, s23, s21
	s_mul_i32 s21, s23, s21
	s_add_u32 s11, s11, s21
	s_mul_hi_u32 s24, s23, s19
	s_addc_u32 s3, s3, s25
	s_addc_u32 s11, s24, 0
	s_mul_i32 s19, s23, s19
	s_add_u32 s3, s3, s19
	s_addc_u32 s11, 0, s11
	s_mul_i32 s11, s9, s11
	s_mul_hi_u32 s24, s9, s3
	s_add_i32 s24, s24, s11
	s_mul_i32 s11, s9, s3
	v_mov_b32_e32 v1, s11
	s_add_u32 s19, s3, 1
	s_add_u32 s21, s3, 2
	v_sub_co_u32_e32 v1, vcc, s22, v1
	s_cmp_lg_u64 vcc, 0
	s_subb_u32 s11, s23, s24
	v_subrev_co_u32_e32 v2, vcc, s9, v1
	s_cmp_lg_u64 vcc, 0
	s_subb_u32 s22, s11, 0
	v_cmp_le_u32_e32 vcc, s9, v2
	s_cmp_eq_u32 s22, 0
	v_cndmask_b32_e64 v2, 0, -1, vcc
	s_cselect_b64 vcc, -1, 0
	v_cndmask_b32_e32 v2, -1, v2, vcc
	v_mov_b32_e32 v3, s19
	v_mov_b32_e32 v4, s21
	v_cmp_ne_u32_e32 vcc, 0, v2
	v_cndmask_b32_e32 v2, v3, v4, vcc
	v_cmp_le_u32_e32 vcc, s9, v1
	s_cmp_eq_u32 s11, 0
	v_cndmask_b32_e64 v1, 0, -1, vcc
	s_cselect_b64 vcc, -1, 0
	v_cndmask_b32_e32 v1, -1, v1, vcc
	v_mov_b32_e32 v3, s3
	v_cmp_ne_u32_e32 vcc, 0, v1
	v_cndmask_b32_e32 v1, v3, v2, vcc
	v_xor_b32_e32 v1, s10, v1
	v_subrev_co_u32_e32 v2, vcc, s10, v1
	s_cbranch_execnz .LBB25_6
.LBB25_5:
	v_cvt_f32_u32_e32 v1, s9
	s_sub_i32 s0, 0, s9
	s_mov_b32 s1, 0
	v_rcp_iflag_f32_e32 v1, v1
	v_mul_f32_e32 v1, 0x4f7ffffe, v1
	v_cvt_u32_f32_e32 v1, v1
	v_readfirstlane_b32 s3, v1
	s_mul_i32 s0, s0, s3
	s_mul_hi_u32 s0, s3, s0
	s_add_i32 s3, s3, s0
	s_mul_hi_u32 s0, s2, s3
	s_mul_i32 s10, s0, s9
	s_sub_i32 s2, s2, s10
	s_add_i32 s3, s0, 1
	s_sub_i32 s10, s2, s9
	s_cmp_ge_u32 s2, s9
	s_cselect_b32 s0, s3, s0
	s_cselect_b32 s2, s10, s2
	s_add_i32 s3, s0, 1
	s_cmp_ge_u32 s2, s9
	s_cselect_b32 s0, s3, s0
	v_pk_mov_b32 v[2:3], s[0:1], s[0:1] op_sel:[0,1]
.LBB25_6:
	s_waitcnt lgkmcnt(0)
	s_mul_hi_u32 s0, s20, s16
	s_add_i32 s0, s0, s20
	v_mul_hi_u32 v1, v2, s16
	s_lshr_b32 s19, s0, s17
	v_add_u32_e32 v1, v1, v2
	s_mul_i32 s0, s19, s18
	v_lshrrev_b32_e32 v1, s17, v1
	s_cmp_eq_u32 s0, s20
	v_cmp_eq_u32_e64 s[0:1], s19, v1
	v_mul_lo_u32 v1, v1, s18
	v_cmp_eq_u32_e32 vcc, s20, v2
	s_cselect_b64 s[10:11], -1, 0
	v_cmp_ne_u32_e64 s[2:3], v1, v2
	s_and_b64 s[0:1], s[0:1], s[2:3]
	s_or_b64 s[2:3], vcc, s[10:11]
	s_or_b64 s[0:1], s[2:3], s[0:1]
	s_and_b64 vcc, exec, s[0:1]
	s_cbranch_vccnz .LBB25_24
; %bb.7:
	s_load_dwordx8 s[24:31], s[4:5], 0x20
	s_load_dword s0, s[4:5], 0x40
	s_mov_b32 s10, 0
	s_waitcnt lgkmcnt(0)
	s_mul_hi_u32 s1, s20, s24
	s_add_i32 s1, s1, s20
	s_lshr_b32 s11, s1, s25
	s_mul_i32 s1, s11, s26
	s_sub_i32 s1, s20, s1
	s_mul_hi_u32 s2, s1, s27
	s_add_i32 s2, s1, s2
	s_lshr_b32 s22, s2, s28
	s_mul_i32 s2, s22, s29
	s_sub_i32 s1, s1, s2
	;; [unrolled: 5-line block ×3, first 2 shown]
	s_mul_hi_u32 s1, s0, s16
	s_add_i32 s0, s0, s1
	s_lshr_b32 s23, s0, s17
	s_add_i32 s23, s23, s7
	s_cmp_lt_i32 s23, s12
	s_cselect_b64 s[0:1], -1, 0
	s_add_i32 s24, s24, s8
	s_cmp_lt_i32 s24, s14
	s_cselect_b64 s[2:3], -1, 0
	s_and_b64 s[0:1], s[0:1], s[2:3]
	s_andn2_b64 vcc, exec, s[0:1]
	s_cbranch_vccnz .LBB25_24
; %bb.8:
	s_load_dwordx4 s[0:3], s[4:5], 0x0
	s_lshl_b32 s4, s9, 2
	s_mov_b32 s5, s10
	s_add_i32 s7, s7, s8
	s_lshl_b64 s[4:5], s[4:5], 2
	s_waitcnt lgkmcnt(0)
	s_add_u32 s8, s2, s4
	s_mul_i32 s11, s11, s12
	s_addc_u32 s21, s3, s5
	s_mul_i32 s22, s22, s14
	s_add_i32 s4, s23, s11
	s_mul_i32 s4, s4, s13
	s_add_i32 s5, s24, s22
	s_add_i32 s5, s5, s4
	v_lshl_or_b32 v2, s5, 8, v0
	v_ashrrev_i32_e32 v3, 31, v2
	v_lshlrev_b64 v[2:3], 2, v[2:3]
	v_mov_b32_e32 v1, s1
	v_add_co_u32_e32 v2, vcc, s0, v2
	v_addc_co_u32_e32 v3, vcc, v1, v3, vcc
	global_load_dword v1, v[2:3], off
	v_cvt_f32_u32_e32 v4, s9
	v_cvt_f32_ubyte0_e32 v5, 0
	s_add_i32 s0, s7, s6
	s_ashr_i32 s1, s0, 31
	v_mac_f32_e32 v4, 0x4f800000, v5
	v_rcp_f32_e32 v4, v4
	v_cvt_f32_u32_e32 v5, s9
	s_lshl_b64 s[0:1], s[0:1], 3
	s_add_u32 s0, s2, s0
	v_mul_f32_e32 v4, 0x5f7ffffc, v4
	v_rcp_iflag_f32_e32 v5, v5
	v_mul_f32_e32 v9, 0x2f800000, v4
	s_addc_u32 s1, s3, s1
	v_trunc_f32_e32 v10, v9
	s_load_dwordx2 s[0:1], s[0:1], 0x0
	v_mac_f32_e32 v4, 0xcf800000, v10
	v_cvt_u32_f32_e32 v9, v4
	v_mul_f32_e32 v4, 0x4f7ffffe, v5
	v_cvt_u32_f32_e32 v10, v10
	v_cvt_u32_f32_e32 v11, v4
	s_add_i32 s13, s6, -1
	s_waitcnt lgkmcnt(0)
	v_mov_b32_e32 v6, s1
	v_mov_b32_e32 v7, s0
	;; [unrolled: 1-line block ×3, first 2 shown]
	s_mov_b32 s6, 0x3fb8aa3b
	s_mov_b32 s12, 0xc2ce8ed0
	;; [unrolled: 1-line block ×4, first 2 shown]
	v_mov_b32_e32 v12, 0x7f800000
	s_mul_hi_i32 s11, s13, s15
	s_cmp_lg_u64 s[10:11], 0
	s_mul_i32 s4, s13, s15
	s_cbranch_scc0 .LBB25_15
.LBB25_9:
	s_sub_u32 s0, 0, s9
	v_readfirstlane_b32 s5, v9
	v_readfirstlane_b32 s24, v10
	s_subb_u32 s1, 0, 0
	s_mul_hi_u32 s23, s0, s5
	s_mul_i32 s25, s0, s24
	s_mul_i32 s22, s1, s5
	s_add_i32 s23, s23, s25
	s_add_i32 s23, s23, s22
	s_mul_i32 s26, s0, s5
	s_mul_hi_u32 s22, s5, s23
	s_mul_i32 s25, s5, s23
	s_mul_hi_u32 s5, s5, s26
	s_add_u32 s5, s5, s25
	s_addc_u32 s22, 0, s22
	s_mul_hi_u32 s27, s24, s26
	s_mul_i32 s26, s24, s26
	s_add_u32 s5, s5, s26
	s_mul_hi_u32 s25, s24, s23
	s_addc_u32 s5, s22, s27
	s_addc_u32 s22, s25, 0
	s_mul_i32 s23, s24, s23
	s_add_u32 s5, s5, s23
	s_addc_u32 s22, 0, s22
	v_add_co_u32_e32 v4, vcc, s5, v9
	s_cmp_lg_u64 vcc, 0
	s_addc_u32 s5, s24, s22
	v_readfirstlane_b32 s23, v4
	s_mul_i32 s22, s0, s5
	s_mul_hi_u32 s24, s0, s23
	s_add_i32 s22, s24, s22
	s_mul_i32 s1, s1, s23
	s_add_i32 s22, s22, s1
	s_mul_i32 s0, s0, s23
	s_mul_hi_u32 s24, s5, s0
	s_mul_i32 s25, s5, s0
	s_mul_i32 s27, s23, s22
	s_mul_hi_u32 s0, s23, s0
	s_mul_hi_u32 s26, s23, s22
	s_add_u32 s0, s0, s27
	s_addc_u32 s23, 0, s26
	s_add_u32 s0, s0, s25
	s_mul_hi_u32 s1, s5, s22
	s_addc_u32 s0, s23, s24
	s_addc_u32 s1, s1, 0
	s_mul_i32 s22, s5, s22
	s_add_u32 s0, s0, s22
	s_addc_u32 s1, 0, s1
	v_add_co_u32_e32 v4, vcc, s0, v4
	s_cmp_lg_u64 vcc, 0
	s_addc_u32 s5, s5, s1
	s_ashr_i32 s0, s11, 31
	s_add_u32 s22, s4, s0
	s_mov_b32 s1, s0
	s_addc_u32 s23, s11, s0
	s_xor_b64 s[22:23], s[22:23], s[0:1]
	v_readfirstlane_b32 s24, v4
	s_mul_i32 s11, s22, s5
	s_mul_hi_u32 s25, s22, s24
	s_mul_hi_u32 s1, s22, s5
	s_add_u32 s11, s25, s11
	s_addc_u32 s1, 0, s1
	s_mul_hi_u32 s26, s23, s24
	s_mul_i32 s24, s23, s24
	s_add_u32 s11, s11, s24
	s_mul_hi_u32 s25, s23, s5
	s_addc_u32 s1, s1, s26
	s_addc_u32 s11, s25, 0
	s_mul_i32 s5, s23, s5
	s_add_u32 s1, s1, s5
	s_addc_u32 s5, 0, s11
	s_mul_i32 s5, s9, s5
	s_mul_hi_u32 s25, s9, s1
	s_add_i32 s25, s25, s5
	s_mul_i32 s5, s9, s1
	v_mov_b32_e32 v4, s5
	s_add_u32 s11, s1, 1
	s_add_u32 s24, s1, 2
	v_sub_co_u32_e32 v4, vcc, s22, v4
	s_cmp_lg_u64 vcc, 0
	s_subb_u32 s5, s23, s25
	v_subrev_co_u32_e32 v5, vcc, s9, v4
	s_cmp_lg_u64 vcc, 0
	s_subb_u32 s22, s5, 0
	v_cmp_le_u32_e32 vcc, s9, v5
	s_cmp_eq_u32 s22, 0
	v_cndmask_b32_e64 v5, 0, -1, vcc
	s_cselect_b64 vcc, -1, 0
	v_cndmask_b32_e32 v5, -1, v5, vcc
	v_mov_b32_e32 v13, s11
	v_mov_b32_e32 v14, s24
	v_cmp_ne_u32_e32 vcc, 0, v5
	v_cndmask_b32_e32 v5, v13, v14, vcc
	v_cmp_le_u32_e32 vcc, s9, v4
	s_cmp_eq_u32 s5, 0
	v_cndmask_b32_e64 v4, 0, -1, vcc
	s_cselect_b64 vcc, -1, 0
	v_cndmask_b32_e32 v4, -1, v4, vcc
	v_mov_b32_e32 v13, s1
	v_cmp_ne_u32_e32 vcc, 0, v4
	v_cndmask_b32_e32 v4, v13, v5, vcc
	v_xor_b32_e32 v4, s0, v4
	v_subrev_co_u32_e32 v4, vcc, s0, v4
	s_cbranch_execnz .LBB25_11
.LBB25_10:
	s_sub_i32 s0, 0, s9
	v_mul_lo_u32 v4, s0, v11
	v_mul_hi_u32 v4, v11, v4
	v_add_u32_e32 v4, v11, v4
	v_mul_hi_u32 v4, s4, v4
	v_mul_lo_u32 v13, v4, s9
	v_sub_u32_e32 v13, s4, v13
	v_add_u32_e32 v5, 1, v4
	v_subrev_u32_e32 v14, s9, v13
	v_cmp_le_u32_e32 vcc, s9, v13
	v_cndmask_b32_e32 v13, v13, v14, vcc
	v_cndmask_b32_e32 v4, v4, v5, vcc
	v_add_u32_e32 v5, 1, v4
	v_cmp_le_u32_e32 vcc, s9, v13
	v_cndmask_b32_e32 v4, v4, v5, vcc
.LBB25_11:
	v_cmp_ne_u32_e32 vcc, v8, v4
	s_cbranch_vccz .LBB25_14
; %bb.12:
	s_add_i32 s22, s13, s7
	v_mul_hi_u32 v5, v4, s16
	s_add_i32 s0, s22, s9
	s_mov_b32 s1, s10
	v_add_u32_e32 v5, v5, v4
	s_lshl_b64 s[0:1], s[0:1], 3
	v_lshrrev_b32_e32 v5, s17, v5
	s_add_u32 s4, s2, s0
	v_mul_lo_u32 v13, v5, s18
	s_addc_u32 s5, s3, s1
	v_cmp_eq_u32_e32 vcc, v13, v4
	v_cmp_gt_u32_e64 s[0:1], s19, v5
	s_or_b64 s[0:1], s[0:1], vcc
	s_and_b64 vcc, exec, s[0:1]
	s_cbranch_vccnz .LBB25_16
; %bb.13:
	s_add_i32 s11, s13, -1
	s_mov_b64 s[0:1], 0
	s_branch .LBB25_17
.LBB25_14:
                                        ; implicit-def: $sgpr0_sgpr1
                                        ; implicit-def: $vgpr14
                                        ; implicit-def: $vgpr5
                                        ; implicit-def: $vgpr13
                                        ; implicit-def: $sgpr11
                                        ; implicit-def: $vgpr4
	s_branch .LBB25_18
.LBB25_15:
                                        ; implicit-def: $vgpr4_vgpr5
	s_branch .LBB25_10
.LBB25_16:
	s_mov_b64 s[0:1], -1
	s_mov_b32 s11, s13
	v_mov_b32_e32 v4, v8
.LBB25_17:
	v_lshl_or_b32 v14, s22, 8, v0
	v_ashrrev_i32_e32 v15, 31, v14
	v_lshlrev_b64 v[14:15], 2, v[14:15]
	v_mov_b32_e32 v5, s21
	v_add_co_u32_e32 v14, vcc, s8, v14
	v_addc_co_u32_e32 v15, vcc, v5, v15, vcc
	global_load_dword v14, v[14:15], off
	s_load_dwordx2 s[4:5], s[4:5], 0x0
	v_max_f32_e32 v5, v7, v7
	s_waitcnt lgkmcnt(0)
	v_max_f32_e64 v13, s4, s4
	v_max_f32_e32 v5, v5, v13
	v_sub_f32_e32 v13, v7, v5
	v_sub_f32_e32 v15, s4, v5
	v_mul_f32_e32 v16, 0x3fb8aa3b, v13
	v_mul_f32_e32 v17, 0x3fb8aa3b, v15
	v_fma_f32 v18, v13, s6, -v16
	v_rndne_f32_e32 v19, v16
	v_fma_f32 v20, v15, s6, -v17
	v_rndne_f32_e32 v21, v17
	v_fmac_f32_e32 v18, 0x32a5705f, v13
	v_sub_f32_e32 v16, v16, v19
	v_fmac_f32_e32 v20, 0x32a5705f, v15
	v_sub_f32_e32 v17, v17, v21
	v_add_f32_e32 v16, v16, v18
	v_cvt_i32_f32_e32 v19, v19
	v_add_f32_e32 v17, v17, v20
	v_exp_f32_e32 v16, v16
	v_cvt_i32_f32_e32 v21, v21
	v_exp_f32_e32 v17, v17
	v_cmp_ngt_f32_e32 vcc, s12, v13
	v_ldexp_f32 v16, v16, v19
	v_cndmask_b32_e32 v16, 0, v16, vcc
	v_ldexp_f32 v17, v17, v21
	v_cmp_ngt_f32_e32 vcc, s12, v15
	v_cndmask_b32_e32 v17, 0, v17, vcc
	v_cmp_nlt_f32_e32 vcc, s14, v13
	v_cndmask_b32_e32 v16, v12, v16, vcc
	v_cmp_nlt_f32_e32 vcc, s14, v15
	v_cndmask_b32_e32 v17, v12, v17, vcc
	v_cmp_le_f32_e32 vcc, s20, v13
	v_cndmask_b32_e32 v16, 0, v16, vcc
	v_cmp_le_f32_e32 vcc, s20, v15
	v_cndmask_b32_e32 v15, 0, v17, vcc
	v_mul_f32_e32 v13, s5, v15
	v_fmac_f32_e32 v13, v6, v16
	s_waitcnt vmcnt(0)
	v_mul_f32_e32 v14, v14, v15
	v_fmac_f32_e32 v14, v1, v16
	s_cbranch_execnz .LBB25_19
.LBB25_18:
	s_add_i32 s11, s13, -1
	s_mov_b64 s[0:1], 0
	v_mov_b32_e32 v4, v8
	v_mov_b32_e32 v13, v6
	;; [unrolled: 1-line block ×3, first 2 shown]
	s_waitcnt vmcnt(0)
	v_mov_b32_e32 v14, v1
.LBB25_19:
	s_andn2_b64 vcc, exec, s[0:1]
	s_cbranch_vccz .LBB25_23
; %bb.20:
	v_mov_b32_e32 v8, v4
	s_mov_b32 s13, s11
	v_mov_b32_e32 v6, v13
	v_mov_b32_e32 v7, v5
	s_waitcnt vmcnt(0)
	v_mov_b32_e32 v1, v14
	s_mul_hi_i32 s11, s13, s15
	s_cmp_lg_u64 s[10:11], 0
	s_mul_i32 s4, s13, s15
	s_cbranch_scc1 .LBB25_9
	s_branch .LBB25_15
.LBB25_21:
                                        ; implicit-def: $sgpr20_sgpr21
	s_load_dwordx4 s[16:19], s[4:5], 0x44
	s_branch .LBB25_2
.LBB25_22:
                                        ; implicit-def: $vgpr2_vgpr3
	s_branch .LBB25_5
.LBB25_23:
	v_div_scale_f32 v0, s[0:1], v13, v13, v14
	s_waitcnt vmcnt(0)
	v_rcp_f32_e32 v1, v0
	v_div_scale_f32 v4, vcc, v14, v13, v14
	v_fma_f32 v5, -v0, v1, 1.0
	v_fmac_f32_e32 v1, v5, v1
	v_mul_f32_e32 v5, v4, v1
	v_fma_f32 v6, -v0, v5, v4
	v_fmac_f32_e32 v5, v6, v1
	v_fma_f32 v0, -v0, v5, v4
	v_div_fmas_f32 v0, v0, v1, v5
	v_div_fixup_f32 v0, v0, v13, v14
	global_store_dword v[2:3], v0, off
.LBB25_24:
	s_endpgm
	.section	.rodata,"a",@progbits
	.p2align	6, 0x0
	.amdhsa_kernel _ZL33flash_attn_stream_k_fixup_generalILi256ELi1ELi1EEvPfPK15HIP_vector_typeIfLj2EEiiiiS1_IjLj3EES5_S5_S5_
		.amdhsa_group_segment_fixed_size 0
		.amdhsa_private_segment_fixed_size 0
		.amdhsa_kernarg_size 336
		.amdhsa_user_sgpr_count 6
		.amdhsa_user_sgpr_private_segment_buffer 1
		.amdhsa_user_sgpr_dispatch_ptr 0
		.amdhsa_user_sgpr_queue_ptr 0
		.amdhsa_user_sgpr_kernarg_segment_ptr 1
		.amdhsa_user_sgpr_dispatch_id 0
		.amdhsa_user_sgpr_flat_scratch_init 0
		.amdhsa_user_sgpr_kernarg_preload_length 0
		.amdhsa_user_sgpr_kernarg_preload_offset 0
		.amdhsa_user_sgpr_private_segment_size 0
		.amdhsa_uses_dynamic_stack 0
		.amdhsa_system_sgpr_private_segment_wavefront_offset 0
		.amdhsa_system_sgpr_workgroup_id_x 1
		.amdhsa_system_sgpr_workgroup_id_y 1
		.amdhsa_system_sgpr_workgroup_id_z 1
		.amdhsa_system_sgpr_workgroup_info 0
		.amdhsa_system_vgpr_workitem_id 0
		.amdhsa_next_free_vgpr 22
		.amdhsa_next_free_sgpr 32
		.amdhsa_accum_offset 24
		.amdhsa_reserve_vcc 1
		.amdhsa_reserve_flat_scratch 0
		.amdhsa_float_round_mode_32 0
		.amdhsa_float_round_mode_16_64 0
		.amdhsa_float_denorm_mode_32 3
		.amdhsa_float_denorm_mode_16_64 3
		.amdhsa_dx10_clamp 1
		.amdhsa_ieee_mode 1
		.amdhsa_fp16_overflow 0
		.amdhsa_tg_split 0
		.amdhsa_exception_fp_ieee_invalid_op 0
		.amdhsa_exception_fp_denorm_src 0
		.amdhsa_exception_fp_ieee_div_zero 0
		.amdhsa_exception_fp_ieee_overflow 0
		.amdhsa_exception_fp_ieee_underflow 0
		.amdhsa_exception_fp_ieee_inexact 0
		.amdhsa_exception_int_div_zero 0
	.end_amdhsa_kernel
	.section	.text._ZL33flash_attn_stream_k_fixup_generalILi256ELi1ELi1EEvPfPK15HIP_vector_typeIfLj2EEiiiiS1_IjLj3EES5_S5_S5_,"axG",@progbits,_ZL33flash_attn_stream_k_fixup_generalILi256ELi1ELi1EEvPfPK15HIP_vector_typeIfLj2EEiiiiS1_IjLj3EES5_S5_S5_,comdat
.Lfunc_end25:
	.size	_ZL33flash_attn_stream_k_fixup_generalILi256ELi1ELi1EEvPfPK15HIP_vector_typeIfLj2EEiiiiS1_IjLj3EES5_S5_S5_, .Lfunc_end25-_ZL33flash_attn_stream_k_fixup_generalILi256ELi1ELi1EEvPfPK15HIP_vector_typeIfLj2EEiiiiS1_IjLj3EES5_S5_S5_
                                        ; -- End function
	.section	.AMDGPU.csdata,"",@progbits
; Kernel info:
; codeLenInByte = 2780
; NumSgprs: 36
; NumVgprs: 22
; NumAgprs: 0
; TotalNumVgprs: 22
; ScratchSize: 0
; MemoryBound: 0
; FloatMode: 240
; IeeeMode: 1
; LDSByteSize: 0 bytes/workgroup (compile time only)
; SGPRBlocks: 4
; VGPRBlocks: 2
; NumSGPRsForWavesPerEU: 36
; NumVGPRsForWavesPerEU: 22
; AccumOffset: 24
; Occupancy: 8
; WaveLimiterHint : 0
; COMPUTE_PGM_RSRC2:SCRATCH_EN: 0
; COMPUTE_PGM_RSRC2:USER_SGPR: 6
; COMPUTE_PGM_RSRC2:TRAP_HANDLER: 0
; COMPUTE_PGM_RSRC2:TGID_X_EN: 1
; COMPUTE_PGM_RSRC2:TGID_Y_EN: 1
; COMPUTE_PGM_RSRC2:TGID_Z_EN: 1
; COMPUTE_PGM_RSRC2:TIDIG_COMP_CNT: 0
; COMPUTE_PGM_RSRC3_GFX90A:ACCUM_OFFSET: 5
; COMPUTE_PGM_RSRC3_GFX90A:TG_SPLIT: 0
	.section	.text._ZL26flash_attn_combine_resultsILi256EEvPKfPK15HIP_vector_typeIfLj2EEPfi,"axG",@progbits,_ZL26flash_attn_combine_resultsILi256EEvPKfPK15HIP_vector_typeIfLj2EEPfi,comdat
	.globl	_ZL26flash_attn_combine_resultsILi256EEvPKfPK15HIP_vector_typeIfLj2EEPfi ; -- Begin function _ZL26flash_attn_combine_resultsILi256EEvPKfPK15HIP_vector_typeIfLj2EEPfi
	.p2align	8
	.type	_ZL26flash_attn_combine_resultsILi256EEvPKfPK15HIP_vector_typeIfLj2EEPfi,@function
_ZL26flash_attn_combine_resultsILi256EEvPKfPK15HIP_vector_typeIfLj2EEPfi: ; @_ZL26flash_attn_combine_resultsILi256EEvPKfPK15HIP_vector_typeIfLj2EEPfi
; %bb.0:
	s_load_dwordx2 s[10:11], s[4:5], 0x20
	s_load_dword s17, s[4:5], 0x18
	s_load_dwordx4 s[0:3], s[4:5], 0x0
	s_load_dwordx2 s[14:15], s[4:5], 0x10
	s_waitcnt lgkmcnt(0)
	s_mul_i32 s4, s10, s8
	s_add_i32 s4, s4, s6
	s_mul_i32 s16, s4, s11
	s_add_i32 s16, s16, s7
	s_lshl_b32 s18, s17, 1
	s_mul_i32 s4, s16, s17
	v_cmp_gt_i32_e32 vcc, s18, v0
	s_and_saveexec_b64 s[6:7], vcc
	s_cbranch_execz .LBB26_13
; %bb.1:
	v_xad_u32 v1, v0, -1, s18
	s_movk_i32 s8, 0xff
	s_ashr_i32 s5, s4, 31
	v_cmp_lt_u32_e32 vcc, s8, v1
	s_mov_b64 s[10:11], -1
	v_mov_b32_e32 v2, v0
	s_and_saveexec_b64 s[8:9], vcc
	s_cbranch_execz .LBB26_10
; %bb.2:
	v_lshrrev_b32_e32 v6, 8, v1
	s_lshl_b64 s[10:11], s[4:5], 3
	v_add_u32_e32 v2, -1, v6
	s_add_u32 s19, s2, s10
	v_or_b32_e32 v1, 0x100, v0
	v_lshrrev_b32_e32 v3, 1, v2
	s_addc_u32 s20, s3, s11
	v_add_u32_e32 v7, 1, v3
	v_cmp_lt_u32_e32 vcc, 13, v2
	v_mov_b32_e32 v4, 0
	v_pk_mov_b32 v[2:3], v[0:1], v[0:1] op_sel:[0,1]
	s_and_saveexec_b64 s[10:11], vcc
	s_cbranch_execz .LBB26_6
; %bb.3:
	v_and_b32_e32 v8, -8, v7
	s_mov_b32 s21, 0
	v_lshl_add_u32 v9, v0, 2, 0
	s_mov_b64 s[12:13], 0
	v_mov_b32_e32 v10, s20
	v_mov_b32_e32 v5, 0
	v_pk_mov_b32 v[2:3], v[0:1], v[0:1] op_sel:[0,1]
.LBB26_4:                               ; =>This Inner Loop Header: Depth=1
	v_mov_b32_e32 v4, v2
	v_lshlrev_b64 v[26:27], 2, v[4:5]
	v_add_u32_e32 v12, 0x200, v3
	v_mov_b32_e32 v13, v5
	v_add_co_u32_e32 v26, vcc, s19, v26
	v_lshlrev_b64 v[12:13], 2, v[12:13]
	v_addc_co_u32_e32 v27, vcc, v10, v27, vcc
	v_add_u32_e32 v14, 0x400, v3
	v_mov_b32_e32 v15, v5
	v_add_co_u32_e32 v12, vcc, s19, v12
	v_lshlrev_b64 v[14:15], 2, v[14:15]
	v_addc_co_u32_e32 v13, vcc, v10, v13, vcc
	;; [unrolled: 5-line block ×7, first 2 shown]
	v_mov_b32_e32 v4, v3
	v_add_co_u32_e32 v24, vcc, s19, v24
	v_lshlrev_b64 v[28:29], 2, v[4:5]
	v_addc_co_u32_e32 v25, vcc, v10, v25, vcc
	v_add_u32_e32 v4, 0x200, v2
	v_add_co_u32_e32 v28, vcc, s19, v28
	v_addc_co_u32_e32 v29, vcc, v10, v29, vcc
	global_load_dword v1, v[26:27], off
	v_lshlrev_b64 v[26:27], 2, v[4:5]
	v_add_u32_e32 v4, 0x400, v2
	v_add_co_u32_e32 v26, vcc, s19, v26
	v_addc_co_u32_e32 v27, vcc, v10, v27, vcc
	v_lshlrev_b64 v[30:31], 2, v[4:5]
	v_add_u32_e32 v4, 0x600, v2
	global_load_dword v11, v[28:29], off
	global_load_dword v32, v[26:27], off
	global_load_dword v33, v[12:13], off
	v_add_co_u32_e32 v12, vcc, s19, v30
	v_addc_co_u32_e32 v13, vcc, v10, v31, vcc
	v_lshlrev_b64 v[26:27], 2, v[4:5]
	v_add_u32_e32 v4, 0x800, v2
	v_add_co_u32_e32 v26, vcc, s19, v26
	v_addc_co_u32_e32 v27, vcc, v10, v27, vcc
	v_lshlrev_b64 v[28:29], 2, v[4:5]
	v_add_u32_e32 v4, 0xa00, v2
	global_load_dword v30, v[12:13], off
	global_load_dword v31, v[14:15], off
	;; [unrolled: 1-line block ×4, first 2 shown]
	v_add_co_u32_e32 v12, vcc, s19, v28
	v_addc_co_u32_e32 v13, vcc, v10, v29, vcc
	v_lshlrev_b64 v[14:15], 2, v[4:5]
	v_add_u32_e32 v4, 0xc00, v2
	v_add_co_u32_e32 v14, vcc, s19, v14
	v_addc_co_u32_e32 v15, vcc, v10, v15, vcc
	v_lshlrev_b64 v[16:17], 2, v[4:5]
	v_add_u32_e32 v4, 0xe00, v2
	global_load_dword v26, v[12:13], off
	global_load_dword v27, v[18:19], off
	;; [unrolled: 1-line block ×4, first 2 shown]
	v_add_co_u32_e32 v12, vcc, s19, v16
	v_addc_co_u32_e32 v13, vcc, v10, v17, vcc
	v_lshlrev_b64 v[14:15], 2, v[4:5]
	v_add_co_u32_e32 v14, vcc, s19, v14
	v_addc_co_u32_e32 v15, vcc, v10, v15, vcc
	global_load_dword v16, v[12:13], off
	global_load_dword v17, v[22:23], off
	global_load_dword v18, v[14:15], off
	global_load_dword v19, v[24:25], off
	v_add_u32_e32 v8, -8, v8
	s_add_i32 s21, s21, 16
	v_cmp_eq_u32_e32 vcc, 0, v8
	v_add_u32_e32 v3, 0x1000, v3
	v_mov_b32_e32 v4, s21
	s_or_b64 s[12:13], vcc, s[12:13]
	v_add_u32_e32 v2, 0x1000, v2
	s_waitcnt vmcnt(14)
	ds_write2st64_b32 v9, v1, v11 offset1:4
	s_waitcnt vmcnt(12)
	ds_write2st64_b32 v9, v32, v33 offset0:8 offset1:12
	s_waitcnt vmcnt(10)
	ds_write2st64_b32 v9, v30, v31 offset0:16 offset1:20
	s_waitcnt vmcnt(8)
	ds_write2st64_b32 v9, v34, v35 offset0:24 offset1:28
	s_waitcnt vmcnt(6)
	ds_write2st64_b32 v9, v26, v27 offset0:32 offset1:36
	s_waitcnt vmcnt(4)
	ds_write2st64_b32 v9, v28, v29 offset0:40 offset1:44
	s_waitcnt vmcnt(2)
	ds_write2st64_b32 v9, v16, v17 offset0:48 offset1:52
	s_waitcnt vmcnt(0)
	ds_write2st64_b32 v9, v18, v19 offset0:56 offset1:60
	v_add_u32_e32 v9, 0x4000, v9
	s_andn2_b64 exec, exec, s[12:13]
	s_cbranch_execnz .LBB26_4
; %bb.5:
	s_or_b64 exec, exec, s[12:13]
.LBB26_6:
	s_or_b64 exec, exec, s[10:11]
	v_and_b32_e32 v1, 7, v7
	v_cmp_ne_u32_e32 vcc, 0, v1
	s_and_saveexec_b64 s[10:11], vcc
	s_cbranch_execz .LBB26_9
; %bb.7:
	v_lshlrev_b32_e32 v5, 2, v0
	v_lshl_or_b32 v4, v4, 10, v5
	v_add_u32_e32 v7, 0, v4
	s_mov_b64 s[12:13], 0
	v_mov_b32_e32 v8, s20
	v_mov_b32_e32 v5, 0
.LBB26_8:                               ; =>This Inner Loop Header: Depth=1
	v_mov_b32_e32 v4, v2
	v_lshlrev_b64 v[10:11], 2, v[4:5]
	v_mov_b32_e32 v4, v3
	v_add_co_u32_e32 v10, vcc, s19, v10
	v_addc_co_u32_e32 v11, vcc, v8, v11, vcc
	v_lshlrev_b64 v[12:13], 2, v[4:5]
	v_add_co_u32_e32 v12, vcc, s19, v12
	v_addc_co_u32_e32 v13, vcc, v8, v13, vcc
	global_load_dword v4, v[10:11], off
	global_load_dword v9, v[12:13], off
	v_add_u32_e32 v1, -1, v1
	v_cmp_eq_u32_e32 vcc, 0, v1
	v_add_u32_e32 v2, 0x200, v2
	v_add_u32_e32 v3, 0x200, v3
	s_or_b64 s[12:13], vcc, s[12:13]
	s_waitcnt vmcnt(0)
	ds_write2st64_b32 v7, v4, v9 offset1:4
	v_add_u32_e32 v7, 0x800, v7
	s_andn2_b64 exec, exec, s[12:13]
	s_cbranch_execnz .LBB26_8
.LBB26_9:
	s_or_b64 exec, exec, s[10:11]
	v_add_u32_e32 v1, 1, v6
	v_and_b32_e32 v3, 0x1fffffe, v1
	v_cmp_ne_u32_e32 vcc, v1, v3
	v_lshl_or_b32 v2, v3, 8, v0
	s_orn2_b64 s[10:11], vcc, exec
.LBB26_10:
	s_or_b64 exec, exec, s[8:9]
	s_and_b64 exec, exec, s[10:11]
	s_cbranch_execz .LBB26_13
; %bb.11:
	s_lshl_b64 s[8:9], s[4:5], 3
	v_mov_b32_e32 v3, 0
	s_add_u32 s2, s2, s8
	v_lshlrev_b64 v[4:5], 2, v[2:3]
	s_addc_u32 s3, s3, s9
	v_mov_b32_e32 v1, s3
	v_add_co_u32_e32 v4, vcc, s2, v4
	v_addc_co_u32_e32 v5, vcc, v1, v5, vcc
	v_lshl_add_u32 v1, v2, 2, 0
	s_mov_b64 s[2:3], 0
.LBB26_12:                              ; =>This Inner Loop Header: Depth=1
	global_load_dword v3, v[4:5], off
	v_add_co_u32_e32 v4, vcc, 0x400, v4
	v_add_u32_e32 v2, 0x100, v2
	v_addc_co_u32_e32 v5, vcc, 0, v5, vcc
	v_cmp_le_i32_e32 vcc, s18, v2
	s_or_b64 s[2:3], vcc, s[2:3]
	s_waitcnt vmcnt(0)
	ds_write_b32 v1, v3
	v_add_u32_e32 v1, 0x400, v1
	s_andn2_b64 exec, exec, s[2:3]
	s_cbranch_execnz .LBB26_12
.LBB26_13:
	s_or_b64 exec, exec, s[6:7]
	v_mov_b32_e32 v1, 0
	s_waitcnt lgkmcnt(0)
	s_barrier
	ds_read_b32 v1, v1
	s_cmp_lt_i32 s17, 2
	s_cbranch_scc1 .LBB26_21
; %bb.14:
	s_add_i32 s2, s17, -1
	s_add_i32 s3, s17, -2
	s_cmp_lt_u32 s3, 7
	s_cbranch_scc1 .LBB26_18
; %bb.15:
	s_mov_b32 s6, 0
	s_add_i32 s3, 0, 8
	s_and_b32 s5, s2, -8
.LBB26_16:                              ; =>This Inner Loop Header: Depth=1
	v_mov_b32_e32 v8, s3
	ds_read2_b32 v[2:3], v8 offset1:2
	ds_read2_b32 v[4:5], v8 offset0:4 offset1:6
	ds_read2_b32 v[6:7], v8 offset0:8 offset1:10
	;; [unrolled: 1-line block ×3, first 2 shown]
	s_mov_b32 s7, s6
	s_waitcnt lgkmcnt(3)
	v_max3_f32 v1, v1, v2, v3
	s_waitcnt lgkmcnt(2)
	v_max3_f32 v1, v1, v4, v5
	s_add_i32 s3, s3, 64
	s_add_i32 s6, s6, 8
	s_waitcnt lgkmcnt(1)
	v_max3_f32 v1, v1, v6, v7
	s_cmp_eq_u32 s5, s6
	s_waitcnt lgkmcnt(0)
	v_max3_f32 v1, v1, v8, v9
	s_cbranch_scc0 .LBB26_16
; %bb.17:
	s_add_i32 s3, s7, 9
	s_and_b32 s2, s2, 7
	s_cmp_eq_u32 s2, 0
	s_cbranch_scc0 .LBB26_19
	s_branch .LBB26_21
.LBB26_18:
	s_mov_b32 s3, 1
	s_and_b32 s2, s2, 7
	s_cmp_eq_u32 s2, 0
	s_cbranch_scc1 .LBB26_21
.LBB26_19:
	s_lshl_b32 s3, s3, 3
	s_add_i32 s3, s3, 0
.LBB26_20:                              ; =>This Inner Loop Header: Depth=1
	v_mov_b32_e32 v2, s3
	ds_read_b32 v2, v2
	s_waitcnt lgkmcnt(1)
	v_max_f32_e32 v1, v1, v1
	s_add_i32 s3, s3, 8
	s_add_i32 s2, s2, -1
	s_cmp_lg_u32 s2, 0
	s_waitcnt lgkmcnt(0)
	v_max_f32_e32 v2, v2, v2
	v_max_f32_e32 v1, v1, v2
	s_cbranch_scc1 .LBB26_20
.LBB26_21:
	s_cmp_lt_i32 s17, 1
	s_cbranch_scc1 .LBB26_26
; %bb.22:
	s_lshl_b32 s2, s4, 8
	s_ashr_i32 s3, s2, 31
	s_lshl_b64 s[2:3], s[2:3], 2
	s_add_u32 s18, s0, s2
	s_addc_u32 s19, s1, s3
	s_cmp_lt_u32 s17, 8
	v_mov_b32_e32 v6, 0
	s_cbranch_scc1 .LBB26_27
; %bb.23:
	s_and_b32 s20, s17, 0x7ffffff8
	v_or_b32_e32 v2, 0x700, v0
	s_mov_b32 s21, 0
	v_mov_b32_e32 v5, 0
	s_mov_b32 s22, 0x3fb8aa3b
	s_mov_b32 s23, 0xc2ce8ed0
	;; [unrolled: 1-line block ×3, first 2 shown]
	v_mov_b32_e32 v8, 0x7f800000
	v_mov_b32_e32 v9, s19
	s_mov_b32 s25, 0
	v_mov_b32_e32 v7, 0
	v_mov_b32_e32 v6, 0
.LBB26_24:                              ; =>This Inner Loop Header: Depth=1
	v_add_u32_e32 v4, 0xfffff900, v2
	v_lshlrev_b64 v[26:27], 2, v[4:5]
	v_mov_b32_e32 v3, v5
	v_add_co_u32_e32 v26, vcc, s18, v26
	v_lshlrev_b64 v[28:29], 2, v[2:3]
	v_addc_co_u32_e32 v27, vcc, v9, v27, vcc
	v_add_u32_e32 v4, 0xfffffa00, v2
	v_add_co_u32_e32 v28, vcc, s18, v28
	v_mov_b32_e32 v22, s21
	v_lshlrev_b64 v[30:31], 2, v[4:5]
	v_addc_co_u32_e32 v29, vcc, v9, v29, vcc
	ds_read2_b64 v[10:13], v22 offset1:1
	ds_read2_b64 v[14:17], v22 offset0:2 offset1:3
	ds_read2_b64 v[18:21], v22 offset0:4 offset1:5
	;; [unrolled: 1-line block ×3, first 2 shown]
	v_add_u32_e32 v4, 0xfffffb00, v2
	global_load_dword v3, v[26:27], off
	v_add_co_u32_e32 v26, vcc, s18, v30
	v_addc_co_u32_e32 v27, vcc, v9, v31, vcc
	v_lshlrev_b64 v[30:31], 2, v[4:5]
	v_add_u32_e32 v4, 0xfffffc00, v2
	v_add_co_u32_e32 v30, vcc, s18, v30
	v_addc_co_u32_e32 v31, vcc, v9, v31, vcc
	v_lshlrev_b64 v[32:33], 2, v[4:5]
	v_add_u32_e32 v4, 0xfffffd00, v2
	global_load_dword v34, v[26:27], off
	global_load_dword v35, v[30:31], off
	v_add_co_u32_e32 v26, vcc, s18, v32
	v_addc_co_u32_e32 v27, vcc, v9, v33, vcc
	v_lshlrev_b64 v[30:31], 2, v[4:5]
	v_add_u32_e32 v4, 0xfffffe00, v2
	v_add_co_u32_e32 v30, vcc, s18, v30
	v_addc_co_u32_e32 v31, vcc, v9, v31, vcc
	v_lshlrev_b64 v[32:33], 2, v[4:5]
	global_load_dword v36, v[26:27], off
	v_add_u32_e32 v4, 0xffffff00, v2
	global_load_dword v28, v[28:29], off
	v_add_co_u32_e32 v26, vcc, s18, v32
	v_addc_co_u32_e32 v27, vcc, v9, v33, vcc
	global_load_dword v42, v[30:31], off
	s_waitcnt lgkmcnt(3)
	v_sub_f32_e32 v12, v12, v1
	global_load_dword v26, v[26:27], off
	v_lshlrev_b64 v[30:31], 2, v[4:5]
	v_add_co_u32_e32 v30, vcc, s18, v30
	v_addc_co_u32_e32 v31, vcc, v9, v31, vcc
	global_load_dword v30, v[30:31], off
	s_waitcnt lgkmcnt(2)
	v_sub_f32_e32 v14, v14, v1
	v_sub_f32_e32 v10, v10, v1
	v_mul_f32_e32 v38, 0x3fb8aa3b, v12
	v_mul_f32_e32 v39, 0x3fb8aa3b, v14
	s_waitcnt lgkmcnt(1)
	v_sub_f32_e32 v18, v18, v1
	s_waitcnt lgkmcnt(0)
	v_sub_f32_e32 v22, v22, v1
	v_mul_f32_e32 v37, 0x3fb8aa3b, v10
	v_fma_f32 v45, v12, s22, -v38
	v_rndne_f32_e32 v46, v38
	v_fma_f32 v47, v14, s22, -v39
	v_rndne_f32_e32 v48, v39
	v_sub_f32_e32 v16, v16, v1
	v_sub_f32_e32 v20, v20, v1
	v_mul_f32_e32 v41, 0x3fb8aa3b, v18
	v_mul_f32_e32 v32, 0x3fb8aa3b, v22
	v_fma_f32 v33, v10, s22, -v37
	v_rndne_f32_e32 v44, v37
	v_fmac_f32_e32 v45, 0x32a5705f, v12
	v_sub_f32_e32 v38, v38, v46
	v_fmac_f32_e32 v47, 0x32a5705f, v14
	v_sub_f32_e32 v39, v39, v48
	v_mul_f32_e32 v40, 0x3fb8aa3b, v16
	v_mul_f32_e32 v43, 0x3fb8aa3b, v20
	v_fma_f32 v27, v18, s22, -v41
	v_rndne_f32_e32 v31, v41
	v_fmac_f32_e32 v33, 0x32a5705f, v10
	v_sub_f32_e32 v37, v37, v44
	v_add_f32_e32 v38, v38, v45
	v_fma_f32 v45, v22, s22, -v32
	v_add_f32_e32 v39, v39, v47
	v_rndne_f32_e32 v47, v32
	v_fma_f32 v49, v16, s22, -v40
	v_rndne_f32_e32 v50, v40
	v_fma_f32 v29, v20, s22, -v43
	v_add_f32_e32 v33, v37, v33
	v_rndne_f32_e32 v37, v43
	v_fmac_f32_e32 v27, 0x32a5705f, v18
	v_sub_f32_e32 v41, v41, v31
	v_fmac_f32_e32 v45, 0x32a5705f, v22
	v_sub_f32_e32 v32, v32, v47
	;; [unrolled: 2-line block ×3, first 2 shown]
	v_add_f32_e32 v27, v41, v27
	v_cvt_i32_f32_e32 v44, v44
	v_fmac_f32_e32 v29, 0x32a5705f, v20
	v_sub_f32_e32 v43, v43, v37
	v_add_f32_e32 v32, v32, v45
	v_exp_f32_e32 v33, v33
	v_add_f32_e32 v40, v40, v49
	v_cvt_i32_f32_e32 v46, v46
	v_cvt_i32_f32_e32 v31, v31
	;; [unrolled: 1-line block ×3, first 2 shown]
	v_add_f32_e32 v29, v43, v29
	v_exp_f32_e32 v38, v38
	v_exp_f32_e32 v27, v27
	;; [unrolled: 1-line block ×3, first 2 shown]
	v_sub_f32_e32 v24, v24, v1
	v_cvt_i32_f32_e32 v48, v48
	v_cvt_i32_f32_e32 v50, v50
	;; [unrolled: 1-line block ×3, first 2 shown]
	v_exp_f32_e32 v39, v39
	v_exp_f32_e32 v40, v40
	;; [unrolled: 1-line block ×3, first 2 shown]
	v_mul_f32_e32 v4, 0x3fb8aa3b, v24
	v_fma_f32 v49, v24, s22, -v4
	v_rndne_f32_e32 v41, v4
	v_ldexp_f32 v33, v33, v44
	v_cmp_ngt_f32_e64 s[12:13], s23, v10
	v_fmac_f32_e32 v49, 0x32a5705f, v24
	v_sub_f32_e32 v4, v4, v41
	v_ldexp_f32 v38, v38, v46
	v_cmp_ngt_f32_e32 vcc, s23, v12
	v_ldexp_f32 v27, v27, v31
	v_ldexp_f32 v31, v32, v47
	v_cndmask_b32_e64 v32, 0, v33, s[12:13]
	v_cmp_nlt_f32_e64 s[12:13], s24, v10
	v_add_f32_e32 v4, v4, v49
	v_ldexp_f32 v39, v39, v48
	v_cmp_ngt_f32_e64 s[0:1], s23, v14
	v_ldexp_f32 v40, v40, v50
	v_cmp_ngt_f32_e64 s[2:3], s23, v16
	v_cmp_ngt_f32_e64 s[4:5], s23, v18
	v_ldexp_f32 v29, v29, v37
	v_cmp_ngt_f32_e64 s[6:7], s23, v20
	v_cmp_ngt_f32_e64 s[8:9], s23, v22
	v_cndmask_b32_e32 v33, 0, v38, vcc
	v_cmp_nlt_f32_e32 vcc, s24, v12
	v_cndmask_b32_e64 v10, v8, v32, s[12:13]
	v_cvt_i32_f32_e32 v41, v41
	v_exp_f32_e32 v4, v4
	v_cndmask_b32_e64 v12, 0, v39, s[0:1]
	v_cmp_nlt_f32_e64 s[0:1], s24, v14
	v_cndmask_b32_e64 v14, 0, v40, s[2:3]
	v_cmp_nlt_f32_e64 s[2:3], s24, v16
	;; [unrolled: 2-line block ×5, first 2 shown]
	v_cndmask_b32_e32 v22, v8, v33, vcc
	v_fmac_f32_e32 v7, v10, v11
	s_waitcnt vmcnt(7)
	v_fmac_f32_e32 v6, v3, v10
	v_cndmask_b32_e64 v12, v8, v12, s[0:1]
	v_fmac_f32_e32 v7, v22, v13
	s_waitcnt vmcnt(6)
	v_fmac_f32_e32 v6, v34, v22
	v_cndmask_b32_e64 v14, v8, v14, s[2:3]
	;; [unrolled: 4-line block ×3, first 2 shown]
	v_fmac_f32_e32 v7, v14, v17
	s_waitcnt vmcnt(4)
	v_fmac_f32_e32 v6, v36, v14
	v_ldexp_f32 v4, v4, v41
	v_cmp_ngt_f32_e64 s[10:11], s23, v24
	v_cndmask_b32_e64 v18, v8, v18, s[6:7]
	v_fmac_f32_e32 v7, v16, v19
	s_waitcnt vmcnt(2)
	v_fmac_f32_e32 v6, v42, v16
	v_cndmask_b32_e64 v4, 0, v4, s[10:11]
	v_cmp_nlt_f32_e64 s[10:11], s24, v24
	v_cndmask_b32_e64 v20, v8, v20, s[8:9]
	v_fmac_f32_e32 v7, v18, v21
	s_waitcnt vmcnt(1)
	v_fmac_f32_e32 v6, v26, v18
	s_add_i32 s25, s25, 8
	s_add_i32 s21, s21, 64
	v_cndmask_b32_e64 v4, v8, v4, s[10:11]
	v_fmac_f32_e32 v7, v20, v23
	s_waitcnt vmcnt(0)
	v_fmac_f32_e32 v6, v30, v20
	s_cmp_eq_u32 s20, s25
	v_add_u32_e32 v2, 0x800, v2
	v_fmac_f32_e32 v7, v4, v25
	v_fmac_f32_e32 v6, v28, v4
	s_cbranch_scc0 .LBB26_24
; %bb.25:
	s_and_b32 s0, s17, 7
	s_cmp_eq_u32 s0, 0
	s_cbranch_scc0 .LBB26_28
	s_branch .LBB26_30
.LBB26_26:
	s_waitcnt lgkmcnt(0)
	v_mov_b32_e32 v1, 0x7fc00000
	s_branch .LBB26_31
.LBB26_27:
	s_mov_b32 s20, 0
	v_mov_b32_e32 v7, 0
	s_and_b32 s0, s17, 7
	s_cmp_eq_u32 s0, 0
	s_cbranch_scc1 .LBB26_30
.LBB26_28:
	s_lshl_b32 s1, s20, 3
	v_lshl_or_b32 v2, s20, 8, v0
	s_add_i32 s1, s1, 0
	s_mov_b32 s2, 0x3fb8aa3b
	s_mov_b32 s3, 0xc2ce8ed0
	;; [unrolled: 1-line block ×3, first 2 shown]
	v_mov_b32_e32 v4, 0x7f800000
	v_mov_b32_e32 v3, 0
	;; [unrolled: 1-line block ×3, first 2 shown]
.LBB26_29:                              ; =>This Inner Loop Header: Depth=1
	v_lshlrev_b64 v[8:9], 2, v[2:3]
	v_add_co_u32_e32 v8, vcc, s18, v8
	v_addc_co_u32_e32 v9, vcc, v5, v9, vcc
	global_load_dword v10, v[8:9], off
	v_mov_b32_e32 v8, s1
	ds_read_b64 v[8:9], v8
	s_add_i32 s1, s1, 8
	s_add_i32 s0, s0, -1
	v_add_u32_e32 v2, 0x100, v2
	s_cmp_lg_u32 s0, 0
	s_waitcnt lgkmcnt(0)
	v_sub_f32_e32 v8, v8, v1
	v_mul_f32_e32 v11, 0x3fb8aa3b, v8
	v_fma_f32 v12, v8, s2, -v11
	v_rndne_f32_e32 v13, v11
	v_fmac_f32_e32 v12, 0x32a5705f, v8
	v_sub_f32_e32 v11, v11, v13
	v_add_f32_e32 v11, v11, v12
	v_cvt_i32_f32_e32 v13, v13
	v_exp_f32_e32 v11, v11
	v_cmp_ngt_f32_e32 vcc, s3, v8
	v_ldexp_f32 v11, v11, v13
	v_cndmask_b32_e32 v11, 0, v11, vcc
	v_cmp_nlt_f32_e32 vcc, s4, v8
	v_cndmask_b32_e32 v8, v4, v11, vcc
	v_fmac_f32_e32 v7, v8, v9
	s_waitcnt vmcnt(0)
	v_fmac_f32_e32 v6, v10, v8
	s_cbranch_scc1 .LBB26_29
.LBB26_30:
	s_waitcnt lgkmcnt(0)
	v_div_scale_f32 v1, s[0:1], v7, v7, v6
	v_rcp_f32_e32 v2, v1
	v_div_scale_f32 v3, vcc, v6, v7, v6
	v_fma_f32 v4, -v1, v2, 1.0
	v_fmac_f32_e32 v2, v4, v2
	v_mul_f32_e32 v4, v3, v2
	v_fma_f32 v5, -v1, v4, v3
	v_fmac_f32_e32 v4, v5, v2
	v_fma_f32 v1, -v1, v4, v3
	v_div_fmas_f32 v1, v1, v2, v4
	v_div_fixup_f32 v1, v1, v7, v6
.LBB26_31:
	s_lshl_b32 s0, s16, 8
	s_ashr_i32 s1, s0, 31
	s_lshl_b64 s[0:1], s[0:1], 2
	s_add_u32 s0, s14, s0
	s_addc_u32 s1, s15, s1
	v_lshlrev_b32_e32 v0, 2, v0
	global_store_dword v0, v1, s[0:1]
	s_endpgm
	.section	.rodata,"a",@progbits
	.p2align	6, 0x0
	.amdhsa_kernel _ZL26flash_attn_combine_resultsILi256EEvPKfPK15HIP_vector_typeIfLj2EEPfi
		.amdhsa_group_segment_fixed_size 0
		.amdhsa_private_segment_fixed_size 0
		.amdhsa_kernarg_size 288
		.amdhsa_user_sgpr_count 6
		.amdhsa_user_sgpr_private_segment_buffer 1
		.amdhsa_user_sgpr_dispatch_ptr 0
		.amdhsa_user_sgpr_queue_ptr 0
		.amdhsa_user_sgpr_kernarg_segment_ptr 1
		.amdhsa_user_sgpr_dispatch_id 0
		.amdhsa_user_sgpr_flat_scratch_init 0
		.amdhsa_user_sgpr_kernarg_preload_length 0
		.amdhsa_user_sgpr_kernarg_preload_offset 0
		.amdhsa_user_sgpr_private_segment_size 0
		.amdhsa_uses_dynamic_stack 0
		.amdhsa_system_sgpr_private_segment_wavefront_offset 0
		.amdhsa_system_sgpr_workgroup_id_x 1
		.amdhsa_system_sgpr_workgroup_id_y 1
		.amdhsa_system_sgpr_workgroup_id_z 1
		.amdhsa_system_sgpr_workgroup_info 0
		.amdhsa_system_vgpr_workitem_id 0
		.amdhsa_next_free_vgpr 51
		.amdhsa_next_free_sgpr 26
		.amdhsa_accum_offset 52
		.amdhsa_reserve_vcc 1
		.amdhsa_reserve_flat_scratch 0
		.amdhsa_float_round_mode_32 0
		.amdhsa_float_round_mode_16_64 0
		.amdhsa_float_denorm_mode_32 3
		.amdhsa_float_denorm_mode_16_64 3
		.amdhsa_dx10_clamp 1
		.amdhsa_ieee_mode 1
		.amdhsa_fp16_overflow 0
		.amdhsa_tg_split 0
		.amdhsa_exception_fp_ieee_invalid_op 0
		.amdhsa_exception_fp_denorm_src 0
		.amdhsa_exception_fp_ieee_div_zero 0
		.amdhsa_exception_fp_ieee_overflow 0
		.amdhsa_exception_fp_ieee_underflow 0
		.amdhsa_exception_fp_ieee_inexact 0
		.amdhsa_exception_int_div_zero 0
	.end_amdhsa_kernel
	.section	.text._ZL26flash_attn_combine_resultsILi256EEvPKfPK15HIP_vector_typeIfLj2EEPfi,"axG",@progbits,_ZL26flash_attn_combine_resultsILi256EEvPKfPK15HIP_vector_typeIfLj2EEPfi,comdat
.Lfunc_end26:
	.size	_ZL26flash_attn_combine_resultsILi256EEvPKfPK15HIP_vector_typeIfLj2EEPfi, .Lfunc_end26-_ZL26flash_attn_combine_resultsILi256EEvPKfPK15HIP_vector_typeIfLj2EEPfi
                                        ; -- End function
	.section	.AMDGPU.csdata,"",@progbits
; Kernel info:
; codeLenInByte = 3048
; NumSgprs: 30
; NumVgprs: 51
; NumAgprs: 0
; TotalNumVgprs: 51
; ScratchSize: 0
; MemoryBound: 0
; FloatMode: 240
; IeeeMode: 1
; LDSByteSize: 0 bytes/workgroup (compile time only)
; SGPRBlocks: 3
; VGPRBlocks: 6
; NumSGPRsForWavesPerEU: 30
; NumVGPRsForWavesPerEU: 51
; AccumOffset: 52
; Occupancy: 8
; WaveLimiterHint : 0
; COMPUTE_PGM_RSRC2:SCRATCH_EN: 0
; COMPUTE_PGM_RSRC2:USER_SGPR: 6
; COMPUTE_PGM_RSRC2:TRAP_HANDLER: 0
; COMPUTE_PGM_RSRC2:TGID_X_EN: 1
; COMPUTE_PGM_RSRC2:TGID_Y_EN: 1
; COMPUTE_PGM_RSRC2:TGID_Z_EN: 1
; COMPUTE_PGM_RSRC2:TIDIG_COMP_CNT: 0
; COMPUTE_PGM_RSRC3_GFX90A:ACCUM_OFFSET: 12
; COMPUTE_PGM_RSRC3_GFX90A:TG_SPLIT: 0
	.section	.text._ZL18flash_attn_ext_vecILi256ELi1EL9ggml_type6ELS0_8ELb1EEvPKcS2_S2_S2_S2_PKiPfP15HIP_vector_typeIfLj2EEffffjfiS6_IjLj3EEiiiiiiiiiiiliiliiiiil,"axG",@progbits,_ZL18flash_attn_ext_vecILi256ELi1EL9ggml_type6ELS0_8ELb1EEvPKcS2_S2_S2_S2_PKiPfP15HIP_vector_typeIfLj2EEffffjfiS6_IjLj3EEiiiiiiiiiiiliiliiiiil,comdat
	.globl	_ZL18flash_attn_ext_vecILi256ELi1EL9ggml_type6ELS0_8ELb1EEvPKcS2_S2_S2_S2_PKiPfP15HIP_vector_typeIfLj2EEffffjfiS6_IjLj3EEiiiiiiiiiiiliiliiiiil ; -- Begin function _ZL18flash_attn_ext_vecILi256ELi1EL9ggml_type6ELS0_8ELb1EEvPKcS2_S2_S2_S2_PKiPfP15HIP_vector_typeIfLj2EEffffjfiS6_IjLj3EEiiiiiiiiiiiliiliiiiil
	.p2align	8
	.type	_ZL18flash_attn_ext_vecILi256ELi1EL9ggml_type6ELS0_8ELb1EEvPKcS2_S2_S2_S2_PKiPfP15HIP_vector_typeIfLj2EEffffjfiS6_IjLj3EEiiiiiiiiiiiliiliiiiil,@function
_ZL18flash_attn_ext_vecILi256ELi1EL9ggml_type6ELS0_8ELb1EEvPKcS2_S2_S2_S2_PKiPfP15HIP_vector_typeIfLj2EEffffjfiS6_IjLj3EEiiiiiiiiiiiliiliiiiil: ; @_ZL18flash_attn_ext_vecILi256ELi1EL9ggml_type6ELS0_8ELb1EEvPKcS2_S2_S2_S2_PKiPfP15HIP_vector_typeIfLj2EEffffjfiS6_IjLj3EEiiiiiiiiiiiliiliiiiil
; %bb.0:
	s_load_dwordx2 s[28:29], s[4:5], 0x64
	s_load_dwordx2 s[34:35], s[4:5], 0x80
	;; [unrolled: 1-line block ×3, first 2 shown]
	s_load_dwordx4 s[24:27], s[4:5], 0x40
	s_load_dwordx2 s[36:37], s[4:5], 0x50
	s_waitcnt lgkmcnt(0)
	v_cvt_f32_u32_e32 v1, s29
	s_sub_i32 s0, 0, s29
	v_mov_b32_e32 v111, 1.0
	s_mov_b32 s38, s24
	v_rcp_iflag_f32_e32 v1, v1
	s_mov_b32 s39, s25
	v_mul_f32_e32 v1, 0x4f7ffffe, v1
	v_cvt_u32_f32_e32 v1, v1
	v_readfirstlane_b32 s1, v1
	s_mul_i32 s0, s0, s1
	s_mul_hi_u32 s0, s1, s0
	s_add_i32 s1, s1, s0
	s_mul_hi_u32 s0, s8, s1
	s_mul_i32 s1, s0, s29
	s_sub_i32 s1, s8, s1
	s_add_i32 s2, s0, 1
	s_sub_i32 s3, s1, s29
	s_cmp_ge_u32 s1, s29
	s_cselect_b32 s0, s2, s0
	s_cselect_b32 s1, s3, s1
	s_add_i32 s2, s0, 1
	s_cmp_ge_u32 s1, s29
	s_cselect_b32 s33, s2, s0
	s_abs_i32 s0, s35
	v_cvt_f32_u32_e32 v1, s0
	s_mul_i32 s3, s33, s29
	s_sub_i32 s9, 0, s0
	s_sub_i32 s30, s8, s3
	v_rcp_iflag_f32_e32 v1, v1
	s_abs_i32 s2, s29
	s_xor_b32 s1, s29, s35
	s_ashr_i32 s1, s1, 31
	v_mul_f32_e32 v1, 0x4f7ffffe, v1
	v_cvt_u32_f32_e32 v1, v1
	v_readfirstlane_b32 s3, v1
	s_mul_i32 s9, s9, s3
	s_mul_hi_u32 s8, s3, s9
	s_add_i32 s3, s3, s8
	s_mul_hi_u32 s3, s2, s3
	s_mul_i32 s8, s3, s0
	s_sub_i32 s2, s2, s8
	s_add_i32 s9, s3, 1
	s_sub_i32 s8, s2, s0
	s_cmp_ge_u32 s2, s0
	s_cselect_b32 s3, s9, s3
	s_cselect_b32 s2, s8, s2
	s_add_i32 s8, s3, 1
	s_cmp_ge_u32 s2, s0
	s_cselect_b32 s0, s8, s3
	s_xor_b32 s0, s0, s1
	s_sub_i32 s42, s0, s1
	s_abs_i32 s44, s42
	s_abs_i32 s35, s40
	v_cvt_f32_u32_e32 v1, s44
	v_cvt_f32_u32_e32 v2, s35
	s_sub_i32 s0, 0, s35
	s_sub_i32 s1, 0, s44
	v_rcp_iflag_f32_e32 v1, v1
	v_rcp_iflag_f32_e32 v2, v2
	s_abs_i32 s45, s30
	s_abs_i32 s40, s33
	v_mul_f32_e32 v1, 0x4f7ffffe, v1
	v_mul_f32_e32 v2, 0x4f7ffffe, v2
	v_cvt_u32_f32_e32 v1, v1
	v_cvt_u32_f32_e32 v2, v2
	v_readfirstlane_b32 s10, v1
	v_readfirstlane_b32 s11, v2
	s_mul_i32 s1, s1, s10
	s_mul_i32 s0, s0, s11
	s_mul_hi_u32 s1, s10, s1
	s_mul_hi_u32 s0, s11, s0
	s_add_i32 s10, s10, s1
	s_add_i32 s11, s11, s0
	v_cmp_le_f32_e64 s[0:1], s25, 0
	s_and_b64 vcc, exec, s[0:1]
	s_cbranch_vccnz .LBB27_2
; %bb.1:
	s_sub_i32 s0, s30, s36
	s_lshl_b32 s0, s0, 1
	s_add_i32 s2, s30, 1
	s_or_b32 s3, s0, 1
	s_cmp_lt_u32 s30, s36
	s_cselect_b64 vcc, -1, 0
	s_and_b64 s[0:1], vcc, exec
	v_mov_b32_e32 v1, s27
	v_mov_b32_e32 v2, s26
	s_cselect_b32 s0, s2, s3
	v_cndmask_b32_e32 v18, v1, v2, vcc
	v_cvt_f32_i32_e32 v1, s0
	v_cmp_neq_f32_e32 vcc, 1.0, v18
	s_mov_b32 s0, 0x3f2aaaab
	s_movk_i32 s2, 0x204
	v_cndmask_b32_e32 v19, 1.0, v1, vcc
	v_cmp_eq_f32_e32 vcc, 0, v19
	v_cndmask_b32_e64 v20, |v18|, 1.0, vcc
	v_frexp_mant_f32_e32 v1, v20
	v_cmp_gt_f32_e64 s[0:1], s0, v1
	v_cndmask_b32_e64 v2, 1.0, 2.0, s[0:1]
	v_mul_f32_e32 v1, v1, v2
	v_add_f32_e32 v2, 1.0, v1
	v_rcp_f32_e32 v10, v2
	v_add_f32_e32 v3, -1.0, v2
	v_sub_f32_e32 v5, v1, v3
	v_add_f32_e32 v3, -1.0, v1
	v_mul_f32_e32 v1, v3, v10
	v_mul_f32_e32 v4, v2, v1
	v_fma_f32 v6, v1, v2, -v4
	v_fmac_f32_e32 v6, v1, v5
	v_add_f32_e32 v2, v4, v6
	v_sub_f32_e32 v5, v3, v2
	v_pk_add_f32 v[8:9], v[2:3], v[4:5] neg_lo:[0,1] neg_hi:[0,1]
	v_mov_b32_e32 v7, v2
	v_pk_add_f32 v[2:3], v[8:9], v[6:7] neg_lo:[0,1] neg_hi:[0,1]
	v_add_f32_e32 v2, v2, v3
	v_add_f32_e32 v2, v5, v2
	v_mul_f32_e32 v3, v10, v2
	v_add_f32_e32 v2, v1, v3
	v_sub_f32_e32 v1, v2, v1
	v_sub_f32_e32 v1, v3, v1
	v_mul_f32_e32 v3, v2, v2
	v_fma_f32 v5, v2, v2, -v3
	v_add_f32_e32 v4, v1, v1
	v_fmac_f32_e32 v5, v2, v4
	v_add_f32_e32 v4, v3, v5
	v_mov_b32_e32 v6, 0x3e91f4c4
	v_fmac_f32_e32 v6, 0x3e76c4e1, v4
	v_mov_b32_e32 v7, 0x3ecccdef
	v_fmac_f32_e32 v7, v4, v6
	v_sub_f32_e32 v3, v4, v3
	v_sub_f32_e32 v12, v5, v3
	v_mul_f32_e32 v3, v4, v7
	v_fma_f32 v5, v4, v7, -v3
	v_fmac_f32_e32 v5, v12, v7
	v_add_f32_e32 v6, v3, v5
	v_add_f32_e32 v7, 0x3f2aaaaa, v6
	v_sub_f32_e32 v3, v6, v3
	v_sub_f32_e32 v3, v5, v3
	v_add_f32_e32 v5, 0xbf2aaaaa, v7
	v_add_f32_e32 v3, 0x31739010, v3
	v_sub_f32_e32 v5, v6, v5
	v_pk_mul_f32 v[8:9], v[2:3], v[4:5]
	v_fma_f32 v6, v4, v2, -v8
	v_pk_add_f32 v[10:11], v[2:3], v[4:5]
	v_fmac_f32_e32 v6, v4, v1
	v_mov_b32_e32 v9, v11
	v_fmac_f32_e32 v6, v12, v2
	v_pk_add_f32 v[4:5], v[8:9], v[6:7]
	v_sub_f32_e32 v3, v4, v8
	v_sub_f32_e32 v3, v6, v3
	v_sub_f32_e32 v6, v7, v5
	v_add_f32_e32 v9, v11, v6
	v_mov_b32_e32 v6, v5
	v_pk_mul_f32 v[6:7], v[4:5], v[6:7]
	v_cvt_f64_f32_e32 v[10:11], v20
	v_frexp_exp_i32_f64_e32 v7, v[10:11]
	v_subbrev_co_u32_e64 v7, s[0:1], 0, v7, s[0:1]
	v_cvt_f32_i32_e32 v7, v7
	v_fma_f32 v8, v4, v5, -v6
	v_fmac_f32_e32 v8, v4, v9
	s_mov_b32 s0, 0x3f317218
	v_mul_f32_e32 v4, 0x3f317218, v7
	v_fmac_f32_e32 v8, v3, v5
	v_fma_f32 v10, v7, s0, -v4
	v_fmac_f32_e32 v10, 0xb102e308, v7
	v_ldexp_f32 v11, v2, 1
	v_add_f32_e32 v5, v6, v8
	v_pk_add_f32 v[2:3], v[4:5], v[10:11]
	v_mov_b32_e32 v12, v5
	v_mov_b32_e32 v13, v3
	;; [unrolled: 1-line block ×3, first 2 shown]
	v_pk_add_f32 v[6:7], v[12:13], v[6:7] neg_lo:[0,1] neg_hi:[0,1]
	v_mov_b32_e32 v9, v5
	v_ldexp_f32 v1, v1, 1
	v_pk_add_f32 v[6:7], v[8:9], v[6:7] neg_lo:[0,1] neg_hi:[0,1]
	v_add_f32_e32 v1, v1, v6
	v_add_f32_e32 v5, v1, v7
	v_pk_add_f32 v[6:7], v[2:3], v[4:5] neg_lo:[0,1] neg_hi:[0,1]
	v_pk_add_f32 v[8:9], v[2:3], v[4:5]
	v_mov_b32_e32 v12, v6
	v_mov_b32_e32 v13, v9
	v_mov_b32_e32 v11, v2
	v_pk_add_f32 v[12:13], v[10:11], v[12:13]
	v_mov_b32_e32 v4, v13
	v_pk_add_f32 v[14:15], v[4:5], v[2:3] neg_lo:[0,1] neg_hi:[0,1]
	v_mov_b32_e32 v1, v14
	v_mov_b32_e32 v12, v9
	;; [unrolled: 1-line block ×4, first 2 shown]
	v_pk_add_f32 v[6:7], v[10:11], v[6:7] neg_lo:[0,1] neg_hi:[0,1]
	v_pk_add_f32 v[16:17], v[8:9], v[0:1] neg_lo:[0,1] neg_hi:[0,1]
	;; [unrolled: 1-line block ×3, first 2 shown]
	v_mov_b32_e32 v10, v5
	v_pk_add_f32 v[2:3], v[10:11], v[2:3] neg_lo:[0,1] neg_hi:[0,1]
	v_mov_b32_e32 v16, v6
	v_pk_add_f32 v[8:9], v[16:17], v[2:3]
	v_mov_b32_e32 v10, v9
	v_pk_add_f32 v[10:11], v[8:9], v[10:11]
	v_pk_add_f32 v[4:5], v[4:5], v[10:11]
	v_mov_b32_e32 v7, v13
	v_mov_b32_e32 v9, v4
	v_pk_add_f32 v[12:13], v[8:9], v[6:7] neg_lo:[0,1] neg_hi:[0,1]
	v_mov_b32_e32 v3, v10
	v_sub_f32_e32 v1, v8, v12
	v_pk_add_f32 v[2:3], v[2:3], v[12:13] neg_lo:[0,1] neg_hi:[0,1]
	v_sub_f32_e32 v1, v6, v1
	v_add_f32_e32 v1, v2, v1
	v_add_f32_e32 v1, v1, v3
	;; [unrolled: 1-line block ×3, first 2 shown]
	v_sub_f32_e32 v3, v2, v4
	v_sub_f32_e32 v1, v1, v3
	v_mul_f32_e32 v3, v19, v2
	v_fma_f32 v2, v19, v2, -v3
	v_fmac_f32_e32 v2, v19, v1
	v_add_f32_e32 v1, v3, v2
	v_cmp_class_f32_e64 s[0:1], v3, s2
	v_sub_f32_e32 v4, v1, v3
	v_cndmask_b32_e64 v1, v1, v3, s[0:1]
	s_mov_b32 s8, 0x42b17218
	v_mov_b32_e32 v3, 0x37000000
	v_cmp_eq_f32_e64 s[0:1], s8, v1
	v_cndmask_b32_e64 v3, 0, v3, s[0:1]
	v_sub_f32_e32 v2, v2, v4
	v_sub_f32_e32 v4, v1, v3
	s_mov_b32 s0, 0x3fb8aa3b
	v_mul_f32_e32 v5, 0x3fb8aa3b, v4
	v_fma_f32 v6, v4, s0, -v5
	v_rndne_f32_e32 v7, v5
	v_fmac_f32_e32 v6, 0x32a5705f, v4
	v_sub_f32_e32 v5, v5, v7
	v_add_f32_e32 v5, v5, v6
	v_exp_f32_e32 v5, v5
	v_cvt_i32_f32_e32 v6, v7
	s_mov_b32 s3, 0x7f800000
	v_cmp_neq_f32_e64 s[0:1], |v1|, s3
	v_cndmask_b32_e64 v1, 0, v2, s[0:1]
	s_mov_b32 s0, 0xc2ce8ed0
	v_ldexp_f32 v2, v5, v6
	v_cmp_ngt_f32_e64 s[0:1], s0, v4
	v_add_f32_e32 v1, v3, v1
	v_cndmask_b32_e64 v2, 0, v2, s[0:1]
	v_mov_b32_e32 v3, 0x7f800000
	v_cmp_nlt_f32_e64 s[0:1], s8, v4
	v_cndmask_b32_e64 v2, v3, v2, s[0:1]
	v_fma_f32 v1, v2, v1, v2
	v_cmp_class_f32_e64 s[0:1], v2, s2
	v_trunc_f32_e32 v4, v19
	v_cndmask_b32_e64 v1, v1, v2, s[0:1]
	v_cndmask_b32_e64 v2, v18, 1.0, vcc
	v_cmp_eq_f32_e32 vcc, v4, v19
	v_mul_f32_e32 v4, 0.5, v19
	v_trunc_f32_e32 v6, v4
	v_cmp_neq_f32_e64 s[0:1], v6, v4
	s_and_b64 s[0:1], vcc, s[0:1]
	v_cndmask_b32_e64 v4, 1.0, v2, s[0:1]
	s_brev_b32 s12, -2
	v_mov_b32_e32 v5, 0x7fc00000
	v_bfi_b32 v1, s12, v1, v4
	v_cndmask_b32_e32 v4, v5, v1, vcc
	v_cmp_gt_f32_e32 vcc, 0, v2
	v_cndmask_b32_e32 v1, v1, v4, vcc
	v_cmp_eq_f32_e32 vcc, s3, v20
	v_cmp_eq_f32_e64 s[2:3], 0, v2
	v_cmp_gt_f32_e64 s[8:9], 0, v19
	s_xor_b64 s[8:9], s[8:9], s[2:3]
	v_cndmask_b32_e64 v3, v3, 0, s[8:9]
	v_cndmask_b32_e64 v4, 0, v2, s[0:1]
	v_bfi_b32 v3, s12, v3, v4
	s_or_b64 vcc, vcc, s[2:3]
	v_cndmask_b32_e32 v1, v1, v3, vcc
	v_cmp_o_f32_e32 vcc, v2, v2
	v_cndmask_b32_e32 v111, v5, v1, vcc
.LBB27_2:
	s_mul_hi_u32 s46, s45, s10
	s_mul_hi_u32 s36, s40, s11
	s_load_dwordx16 s[8:23], s[4:5], 0x0
	v_bfe_u32 v105, v0, 10, 10
	v_and_b32_e32 v107, 0x3ff, v0
	v_cmp_eq_u32_e64 s[0:1], 0, v105
	v_mbcnt_lo_u32_b32 v109, -1, 0
	s_and_saveexec_b64 s[26:27], s[0:1]
	s_cbranch_execz .LBB27_11
; %bb.3:
	s_load_dwordx4 s[48:51], s[4:5], 0x70
	v_lshlrev_b32_e32 v9, 4, v107
	v_mbcnt_hi_u32_b32 v4, -1, v109
	v_and_b32_e32 v5, 0x60, v4
	v_xor_b32_e32 v6, 4, v4
	s_waitcnt lgkmcnt(0)
	s_mul_i32 s2, s33, s50
	s_mul_i32 s25, s6, s48
	;; [unrolled: 1-line block ×3, first 2 shown]
	s_add_i32 s2, s2, s25
	s_add_i32 s2, s2, s3
	s_ashr_i32 s3, s2, 31
	s_add_u32 s2, s8, s2
	s_addc_u32 s3, s9, s3
	global_load_dwordx4 v[0:3], v9, s[2:3]
	v_add_u32_e32 v5, 32, v5
	v_xor_b32_e32 v7, 2, v4
	v_cmp_lt_i32_e32 vcc, v6, v5
	v_xor_b32_e32 v8, 1, v4
	v_cndmask_b32_e32 v6, v4, v6, vcc
	v_cmp_lt_i32_e32 vcc, v7, v5
	v_cndmask_b32_e32 v7, v4, v7, vcc
	v_cmp_lt_i32_e32 vcc, v8, v5
	v_cndmask_b32_e32 v13, v4, v8, vcc
	v_lshlrev_b32_e32 v8, 2, v6
	v_lshlrev_b32_e32 v6, 2, v7
	;; [unrolled: 1-line block ×3, first 2 shown]
	s_mov_b32 s8, 0x42fe0000
	v_mov_b32_e32 v13, s3
	v_mov_b32_e32 v11, 0
	s_mov_b32 s25, s24
	s_waitcnt vmcnt(0)
	v_mul_f32_e32 v12, s24, v0
	v_mov_b32_e32 v0, v3
	v_pk_mul_f32 v[4:5], v[0:1], s[38:39] op_sel_hi:[1,0]
	v_max_f32_e64 v0, |v12|, |v12|
	v_mul_f32_e32 v10, s24, v2
	v_max_f32_e64 v0, v0, |v5|
	v_max3_f32 v0, v0, |v10|, |v4|
	ds_bpermute_b32 v1, v8, v0
	v_add_f32_e32 v3, v5, v12
	v_fmac_f32_e32 v3, s24, v2
	v_add_f32_e32 v2, v4, v3
	ds_bpermute_b32 v3, v8, v2
	s_waitcnt lgkmcnt(1)
	v_max_f32_e32 v1, v1, v1
	v_max_f32_e32 v0, v0, v1
	ds_bpermute_b32 v1, v6, v0
	s_waitcnt lgkmcnt(1)
	v_add_f32_e32 v2, v2, v3
	ds_bpermute_b32 v3, v6, v2
	s_waitcnt lgkmcnt(1)
	v_max_f32_e32 v1, v1, v1
	v_max_f32_e32 v14, v0, v1
	ds_bpermute_b32 v15, v7, v14
	s_waitcnt lgkmcnt(1)
	v_add_f32_e32 v3, v2, v3
	v_add_co_u32_e32 v0, vcc, s2, v9
	v_addc_co_u32_e32 v1, vcc, 0, v13, vcc
	s_waitcnt lgkmcnt(0)
	v_max_f32_e32 v2, v15, v15
	v_max_f32_e32 v2, v14, v2
	v_div_scale_f32 v13, s[2:3], s8, s8, v2
	v_rcp_f32_e32 v14, v13
	v_div_scale_f32 v15, vcc, v2, s8, v2
	ds_bpermute_b32 v9, v7, v3
	v_fma_f32 v16, -v13, v14, 1.0
	v_fmac_f32_e32 v14, v16, v14
	v_mul_f32_e32 v16, v15, v14
	v_fma_f32 v17, -v13, v16, v15
	v_fmac_f32_e32 v16, v17, v14
	v_fma_f32 v13, -v13, v16, v15
	v_div_fmas_f32 v13, v13, v14, v16
	v_div_fixup_f32 v2, v13, s8, v2
	v_cmp_neq_f32_e32 vcc, 0, v2
	s_and_saveexec_b64 s[2:3], vcc
	s_cbranch_execz .LBB27_5
; %bb.4:
	v_div_scale_f32 v11, s[8:9], v2, v2, v12
	v_rcp_f32_e32 v13, v11
	v_div_scale_f32 v14, vcc, v12, v2, v12
	s_brev_b32 s31, -2
	v_fma_f32 v15, -v11, v13, 1.0
	v_fmac_f32_e32 v13, v15, v13
	v_mul_f32_e32 v15, v14, v13
	v_fma_f32 v16, -v11, v15, v14
	v_fmac_f32_e32 v15, v16, v13
	v_fma_f32 v11, -v11, v15, v14
	v_div_fmas_f32 v11, v11, v13, v15
	v_div_fixup_f32 v11, v11, v2, v12
	v_trunc_f32_e32 v12, v11
	v_sub_f32_e32 v13, v11, v12
	v_cmp_ge_f32_e64 s[8:9], |v13|, 0.5
	v_cndmask_b32_e64 v13, 0, 1.0, s[8:9]
	v_div_scale_f32 v14, s[8:9], v2, v2, v4
	v_rcp_f32_e32 v15, v14
	v_bfi_b32 v11, s31, v13, v11
	v_add_f32_e32 v11, v12, v11
	v_cvt_i32_f32_e32 v11, v11
	v_fma_f32 v12, -v14, v15, 1.0
	v_fmac_f32_e32 v15, v12, v15
	v_div_scale_f32 v12, vcc, v4, v2, v4
	v_mul_f32_e32 v13, v12, v15
	v_fma_f32 v16, -v14, v13, v12
	v_fmac_f32_e32 v13, v16, v15
	v_div_scale_f32 v16, s[8:9], v2, v2, v5
	v_rcp_f32_e32 v17, v16
	v_fma_f32 v12, -v14, v13, v12
	v_div_fmas_f32 v12, v12, v15, v13
	v_div_fixup_f32 v4, v12, v2, v4
	v_fma_f32 v13, -v16, v17, 1.0
	v_fmac_f32_e32 v17, v13, v17
	v_div_scale_f32 v13, vcc, v5, v2, v5
	v_mul_f32_e32 v14, v13, v17
	v_fma_f32 v15, -v16, v14, v13
	v_fmac_f32_e32 v14, v15, v17
	v_div_scale_f32 v15, s[8:9], v2, v2, v10
	v_rcp_f32_e32 v18, v15
	v_fma_f32 v13, -v16, v14, v13
	v_div_fmas_f32 v13, v13, v17, v14
	v_div_fixup_f32 v5, v13, v2, v5
	v_fma_f32 v14, -v15, v18, 1.0
	v_fmac_f32_e32 v18, v14, v18
	v_div_scale_f32 v14, vcc, v10, v2, v10
	v_mul_f32_e32 v16, v14, v18
	v_fma_f32 v17, -v15, v16, v14
	v_fmac_f32_e32 v16, v17, v18
	v_fma_f32 v14, -v15, v16, v14
	v_div_fmas_f32 v14, v14, v18, v16
	v_div_fixup_f32 v10, v14, v2, v10
	v_trunc_f32_e32 v14, v10
	v_sub_f32_e32 v15, v10, v14
	v_trunc_f32_e32 v12, v5
	v_cmp_ge_f32_e64 s[8:9], |v15|, 0.5
	v_sub_f32_e32 v13, v5, v12
	v_cndmask_b32_e64 v15, 0, 1.0, s[8:9]
	v_cmp_ge_f32_e64 s[8:9], |v13|, 0.5
	v_cndmask_b32_e64 v13, 0, 1.0, s[8:9]
	v_bfi_b32 v5, s31, v13, v5
	v_add_f32_e32 v5, v12, v5
	v_trunc_f32_e32 v12, v4
	v_sub_f32_e32 v13, v4, v12
	v_bfi_b32 v10, s31, v15, v10
	v_cmp_ge_f32_e64 s[8:9], |v13|, 0.5
	v_add_f32_e32 v10, v14, v10
	v_cndmask_b32_e64 v13, 0, 1.0, s[8:9]
	v_cvt_i32_f32_e32 v10, v10
	v_bfi_b32 v4, s31, v13, v4
	v_add_f32_e32 v4, v12, v4
	v_cvt_i32_f32_e32 v5, v5
	v_cvt_i32_f32_e32 v4, v4
	v_and_b32_e32 v10, 0xff, v10
	v_lshlrev_b32_e32 v10, 16, v10
	v_mov_b32_e32 v12, 8
	v_lshlrev_b32_sdwa v5, v12, v5 dst_sel:DWORD dst_unused:UNUSED_PAD src0_sel:DWORD src1_sel:BYTE_0
	v_lshl_or_b32 v4, v4, 24, v10
	v_and_b32_e32 v10, 0xff, v11
	v_or3_b32 v11, v4, v5, v10
.LBB27_5:
	s_or_b64 exec, exec, s[2:3]
	v_and_b32_e32 v5, 7, v107
	v_lshlrev_b32_e32 v4, 2, v107
	v_cmp_eq_u32_e64 s[2:3], 0, v5
	ds_write_b32 v4, v11
	s_and_saveexec_b64 s[8:9], s[2:3]
	s_cbranch_execz .LBB27_7
; %bb.6:
	s_waitcnt lgkmcnt(1)
	v_add_f32_e32 v3, v3, v9
	ds_write_b64 v107, v[2:3] offset:256
.LBB27_7:
	s_or_b64 exec, exec, s[8:9]
	global_load_dwordx4 v[0:3], v[0:1], off offset:512
	s_waitcnt vmcnt(0)
	v_mul_f32_e32 v10, s24, v0
	v_mov_b32_e32 v0, v3
	v_pk_mul_f32 v[0:1], v[0:1], s[24:25]
	v_max_f32_e64 v3, |v10|, |v10|
	s_waitcnt lgkmcnt(1)
	v_mul_f32_e32 v9, s24, v2
	v_max_f32_e64 v3, v3, |v1|
	v_max3_f32 v3, v3, |v9|, |v0|
	ds_bpermute_b32 v5, v8, v3
	v_add_f32_e32 v11, v1, v10
	v_fmac_f32_e32 v11, s24, v2
	v_add_f32_e32 v2, v0, v11
	ds_bpermute_b32 v8, v8, v2
	s_waitcnt lgkmcnt(1)
	v_max_f32_e32 v5, v5, v5
	v_max_f32_e32 v3, v3, v5
	ds_bpermute_b32 v5, v6, v3
	s_mov_b32 s24, 0x42fe0000
	s_waitcnt lgkmcnt(1)
	v_add_f32_e32 v2, v2, v8
	ds_bpermute_b32 v6, v6, v2
	s_waitcnt lgkmcnt(1)
	v_max_f32_e32 v5, v5, v5
	v_max_f32_e32 v5, v3, v5
	ds_bpermute_b32 v8, v7, v5
	s_waitcnt lgkmcnt(1)
	v_add_f32_e32 v3, v2, v6
	s_waitcnt lgkmcnt(0)
	v_max_f32_e32 v2, v8, v8
	v_max_f32_e32 v2, v5, v2
	v_div_scale_f32 v6, s[8:9], s24, s24, v2
	v_rcp_f32_e32 v8, v6
	ds_bpermute_b32 v5, v7, v3
	v_div_scale_f32 v7, vcc, v2, s24, v2
	v_fma_f32 v11, -v6, v8, 1.0
	v_fmac_f32_e32 v8, v11, v8
	v_mul_f32_e32 v11, v7, v8
	v_fma_f32 v12, -v6, v11, v7
	v_fmac_f32_e32 v11, v12, v8
	v_fma_f32 v6, -v6, v11, v7
	v_div_fmas_f32 v6, v6, v8, v11
	v_div_fixup_f32 v2, v6, s24, v2
	v_cmp_neq_f32_e32 vcc, 0, v2
	v_mov_b32_e32 v6, 0
	s_and_saveexec_b64 s[8:9], vcc
	s_cbranch_execz .LBB27_9
; %bb.8:
	v_div_scale_f32 v6, s[24:25], v2, v2, v10
	v_rcp_f32_e32 v7, v6
	v_div_scale_f32 v8, vcc, v10, v2, v10
	s_brev_b32 s31, -2
	v_fma_f32 v11, -v6, v7, 1.0
	v_fmac_f32_e32 v7, v11, v7
	v_mul_f32_e32 v11, v8, v7
	v_fma_f32 v12, -v6, v11, v8
	v_fmac_f32_e32 v11, v12, v7
	v_fma_f32 v6, -v6, v11, v8
	v_div_fmas_f32 v6, v6, v7, v11
	v_div_fixup_f32 v6, v6, v2, v10
	v_trunc_f32_e32 v7, v6
	v_sub_f32_e32 v8, v6, v7
	v_cmp_ge_f32_e64 s[24:25], |v8|, 0.5
	v_cndmask_b32_e64 v8, 0, 1.0, s[24:25]
	v_div_scale_f32 v10, s[24:25], v2, v2, v0
	v_rcp_f32_e32 v11, v10
	v_bfi_b32 v6, s31, v8, v6
	v_add_f32_e32 v6, v7, v6
	v_cvt_i32_f32_e32 v6, v6
	v_fma_f32 v7, -v10, v11, 1.0
	v_fmac_f32_e32 v11, v7, v11
	v_div_scale_f32 v7, vcc, v0, v2, v0
	v_mul_f32_e32 v8, v7, v11
	v_fma_f32 v12, -v10, v8, v7
	v_fmac_f32_e32 v8, v12, v11
	v_div_scale_f32 v12, s[24:25], v2, v2, v1
	v_rcp_f32_e32 v13, v12
	v_fma_f32 v7, -v10, v8, v7
	v_div_fmas_f32 v7, v7, v11, v8
	v_div_fixup_f32 v0, v7, v2, v0
	v_fma_f32 v8, -v12, v13, 1.0
	v_fmac_f32_e32 v13, v8, v13
	v_div_scale_f32 v8, vcc, v1, v2, v1
	v_mul_f32_e32 v10, v8, v13
	v_fma_f32 v11, -v12, v10, v8
	v_fmac_f32_e32 v10, v11, v13
	v_div_scale_f32 v11, s[24:25], v2, v2, v9
	v_rcp_f32_e32 v14, v11
	v_fma_f32 v8, -v12, v10, v8
	v_div_fmas_f32 v8, v8, v13, v10
	v_div_fixup_f32 v1, v8, v2, v1
	v_fma_f32 v10, -v11, v14, 1.0
	v_fmac_f32_e32 v14, v10, v14
	v_div_scale_f32 v10, vcc, v9, v2, v9
	v_mul_f32_e32 v12, v10, v14
	v_fma_f32 v13, -v11, v12, v10
	v_fmac_f32_e32 v12, v13, v14
	v_fma_f32 v10, -v11, v12, v10
	v_div_fmas_f32 v10, v10, v14, v12
	v_div_fixup_f32 v9, v10, v2, v9
	v_trunc_f32_e32 v10, v9
	v_sub_f32_e32 v11, v9, v10
	v_cmp_ge_f32_e64 s[24:25], |v11|, 0.5
	v_cndmask_b32_e64 v11, 0, 1.0, s[24:25]
	v_bfi_b32 v9, s31, v11, v9
	v_add_f32_e32 v9, v10, v9
	v_cvt_i32_f32_e32 v9, v9
	v_trunc_f32_e32 v8, v1
	v_and_b32_e32 v6, 0xff, v6
	v_and_b32_e32 v7, 0xff, v9
	v_sub_f32_e32 v9, v1, v8
	v_cmp_ge_f32_e64 s[24:25], |v9|, 0.5
	v_cndmask_b32_e64 v9, 0, 1.0, s[24:25]
	v_bfi_b32 v1, s31, v9, v1
	v_add_f32_e32 v1, v8, v1
	v_trunc_f32_e32 v8, v0
	v_sub_f32_e32 v9, v0, v8
	v_cmp_ge_f32_e64 s[24:25], |v9|, 0.5
	v_cndmask_b32_e64 v9, 0, 1.0, s[24:25]
	v_bfi_b32 v0, s31, v9, v0
	v_add_f32_e32 v0, v8, v0
	v_cvt_i32_f32_e32 v1, v1
	v_cvt_i32_f32_e32 v0, v0
	v_lshlrev_b32_e32 v7, 16, v7
	v_mov_b32_e32 v8, 8
	v_lshlrev_b32_sdwa v1, v8, v1 dst_sel:DWORD dst_unused:UNUSED_PAD src0_sel:DWORD src1_sel:BYTE_0
	v_lshl_or_b32 v0, v0, 24, v7
	v_or3_b32 v6, v0, v1, v6
.LBB27_9:
	s_or_b64 exec, exec, s[8:9]
	ds_write_b32 v4, v6 offset:128
	s_and_b64 exec, exec, s[2:3]
	s_cbranch_execz .LBB27_11
; %bb.10:
	s_waitcnt lgkmcnt(1)
	v_add_f32_e32 v3, v3, v5
	ds_write_b64 v107, v[2:3] offset:288
.LBB27_11:
	s_or_b64 exec, exec, s[26:27]
	v_and_b32_e32 v16, 3, v107
	v_lshlrev_b32_e32 v32, 2, v16
	v_mov_b32_e32 v119, 0
	s_waitcnt lgkmcnt(0)
	s_barrier
	ds_read2_b32 v[34:35], v32 offset1:4
	ds_read2_b32 v[36:37], v32 offset0:8 offset1:12
	ds_read_b128 v[0:3], v119 offset:256
	ds_read_b128 v[4:7], v119 offset:272
	;; [unrolled: 1-line block ×4, first 2 shown]
	ds_read2_b32 v[38:39], v32 offset0:16 offset1:20
	ds_read2_b32 v[40:41], v32 offset0:24 offset1:28
	;; [unrolled: 1-line block ×6, first 2 shown]
	s_ashr_i32 s31, s30, 31
	s_ashr_i32 s2, s42, 31
	;; [unrolled: 1-line block ×3, first 2 shown]
	s_cmp_eq_u64 s[18:19], 0
	s_waitcnt lgkmcnt(0)
	s_barrier
	s_cbranch_scc1 .LBB27_13
; %bb.12:
	s_load_dword s3, s[4:5], 0xd0
	s_mov_b32 s25, 0
	s_waitcnt lgkmcnt(0)
	s_mul_i32 s3, s3, s33
	s_add_i32 s24, s3, s6
	s_lshl_b64 s[24:25], s[24:25], 2
	s_add_u32 s18, s18, s24
	s_addc_u32 s19, s19, s25
	s_load_dword s34, s[18:19], 0x0
.LBB27_13:
	v_lshlrev_b32_e32 v17, 5, v105
	v_add_u32_e32 v113, v17, v107
	s_lshl_b32 s18, s7, 7
	s_mov_b32 s39, 0
	s_waitcnt lgkmcnt(0)
	s_cmp_ge_i32 s18, s34
	v_mov_b32_e32 v146, 0xfeffffff
	v_mov_b32_e32 v151, 0
	v_lshlrev_b32_e32 v115, 1, v113
	v_lshlrev_b32_e32 v117, 2, v107
	v_mov_b32_e32 v152, 0
	v_mov_b32_e32 v149, 0
	;; [unrolled: 1-line block ×3, first 2 shown]
	s_cbranch_scc1 .LBB27_41
; %bb.14:
	s_load_dwordx4 s[24:27], s[4:5], 0x98
	s_load_dwordx2 s[42:43], s[4:5], 0x8c
	s_xor_b32 s2, s31, s2
	s_mul_i32 s36, s36, s35
	v_add_f32_e32 v125, v3, v3
	s_waitcnt lgkmcnt(0)
	s_mul_i32 s3, s33, s25
	s_mul_hi_u32 s9, s33, s24
	s_add_i32 s3, s9, s3
	s_mul_i32 s9, s46, s44
	s_mul_i32 s19, s8, s24
	s_sub_i32 s9, s45, s9
	s_add_i32 s3, s3, s19
	s_add_i32 s19, s46, 1
	s_sub_i32 s25, s9, s44
	s_cmp_ge_u32 s9, s44
	s_cselect_b32 s19, s19, s46
	s_cselect_b32 s9, s25, s9
	s_add_i32 s25, s19, 1
	s_cmp_ge_u32 s9, s44
	s_cselect_b32 s9, s25, s19
	s_xor_b32 s9, s9, s2
	s_sub_i32 s9, s9, s2
	s_mul_i32 s2, s9, s43
	s_mul_i32 s24, s33, s24
	s_ashr_i32 s19, s2, 31
	s_add_u32 s24, s10, s24
	s_addc_u32 s3, s11, s3
	s_load_dwordx2 s[10:11], s[4:5], 0xa8
	v_mul_lo_u32 v56, v17, s26
	s_add_u32 s38, s24, s2
	v_add_u32_e32 v70, s26, v56
	s_addc_u32 s43, s3, s19
	s_waitcnt lgkmcnt(0)
	s_mul_i32 s11, s33, s11
	s_mul_hi_u32 s19, s33, s10
	v_add_u32_e32 v72, s26, v70
	s_add_i32 s11, s19, s11
	s_mul_i32 s19, s8, s10
	s_mul_i32 s9, s9, s27
	v_add_u32_e32 v74, s26, v72
	s_add_i32 s11, s11, s19
	s_mul_i32 s10, s33, s10
	s_ashr_i32 s19, s9, 31
	v_add_u32_e32 v76, s26, v74
	s_add_u32 s10, s12, s10
	v_add_u32_e32 v78, s26, v76
	s_addc_u32 s11, s13, s11
	v_add_u32_e32 v80, s26, v78
	s_add_u32 s9, s10, s9
	v_add_u32_e32 v82, s26, v80
	s_addc_u32 s10, s11, s19
	s_sub_i32 s11, s40, s36
	v_add_u32_e32 v84, s26, v82
	s_sub_i32 s12, s11, s35
	v_add_u32_e32 v86, s26, v84
	s_cmp_ge_u32 s11, s35
	v_add_u32_e32 v88, s26, v86
	s_cselect_b32 s11, s12, s11
	v_add_u32_e32 v90, s26, v88
	s_sub_i32 s12, s11, s35
	v_add_u32_e32 v92, s26, v90
	s_load_dwordx2 s[2:3], s[4:5], 0xc8
	s_load_dword s44, s[4:5], 0xd4
	s_cmp_ge_u32 s11, s35
	v_mbcnt_hi_u32_b32 v3, -1, v109
	v_add_u32_e32 v94, s26, v92
	s_cselect_b32 s11, s12, s11
	v_add_f32_e32 v121, v1, v1
	v_and_b32_e32 v1, 0x7c, v3
	v_add_u32_e32 v96, s26, v94
	s_xor_b32 s11, s11, s8
	v_add_f32_e32 v127, v5, v5
	v_add_u32_e32 v1, 4, v1
	v_xor_b32_e32 v5, 2, v3
	v_add_u32_e32 v98, s26, v96
	s_sub_i32 s8, s11, s8
	v_cmp_lt_i32_e32 vcc, v5, v1
	v_add_u32_e32 v100, s26, v98
	s_ashr_i32 s11, s8, 31
	s_waitcnt lgkmcnt(0)
	s_mul_i32 s3, s8, s3
	s_mul_hi_u32 s12, s8, s2
	v_cndmask_b32_e32 v5, v3, v5, vcc
	v_add_u32_e32 v102, s26, v100
	s_add_i32 s3, s12, s3
	s_mul_i32 s11, s11, s2
	v_lshlrev_b32_e32 v135, 2, v5
	v_xor_b32_e32 v5, 1, v3
	v_add_u32_e32 v104, s26, v102
	s_add_i32 s3, s3, s11
	s_mul_i32 s8, s8, s2
	v_cmp_lt_i32_e32 vcc, v5, v1
	v_add_u32_e32 v106, s26, v104
	s_add_u32 s2, s14, s8
	s_mul_i32 s8, s6, s41
	v_cndmask_b32_e32 v1, v3, v5, vcc
	v_add_u32_e32 v108, s26, v106
	s_addc_u32 s3, s15, s3
	s_ashr_i32 s11, s8, 31
	v_lshlrev_b32_e32 v136, 2, v1
	v_and_b32_e32 v1, 0x60, v3
	v_add_u32_e32 v110, s26, v108
	s_add_u32 s8, s2, s8
	s_mov_b32 s19, s39
	v_add_f32_e32 v129, v7, v7
	v_add_u32_e32 v5, 32, v1
	v_xor_b32_e32 v7, 4, v3
	v_add_u32_e32 v112, s26, v110
	s_addc_u32 s11, s3, s11
	s_lshl_b64 s[2:3], s[18:19], 1
	v_cmp_lt_i32_e32 vcc, v7, v5
	v_add_u32_e32 v114, s26, v112
	s_add_u32 s24, s8, s2
	v_cndmask_b32_e32 v7, v3, v7, vcc
	v_add_u32_e32 v116, s26, v114
	s_addc_u32 s25, s11, s3
	s_mul_i32 s2, s18, s26
	v_lshlrev_b32_e32 v137, 2, v7
	v_xor_b32_e32 v7, 8, v3
	v_add_u32_e32 v118, s26, v116
	s_add_u32 s19, s9, s2
	v_and_b32_e32 v18, 0x7c, v107
	v_cmp_lt_i32_e32 vcc, v7, v5
	v_add_u32_e32 v120, s26, v118
	s_addc_u32 s35, s10, 0
	s_mul_i32 s2, s18, s42
	v_add_u32_e32 v50, v17, v18
	v_cndmask_b32_e32 v7, v3, v7, vcc
	v_add_u32_e32 v122, s26, v120
	s_add_u32 s36, s38, s2
	v_mul_lo_u32 v52, v50, s42
	v_lshlrev_b32_e32 v138, 2, v7
	v_xor_b32_e32 v7, 16, v3
	v_add_u32_e32 v124, s26, v122
	s_addc_u32 s43, s43, 0
	v_add_u32_e32 v54, s42, v52
	v_cmp_lt_i32_e32 vcc, v7, v5
	v_add_u32_e32 v126, s26, v124
	s_cmp_lg_u64 s[14:15], 0
	v_cndmask_b32_e32 v3, v3, v7, vcc
	v_add_u32_e32 v62, s42, v54
	v_add_u32_e32 v128, s26, v126
	s_cselect_b64 s[40:41], -1, 0
	s_lshl_b32 s38, s44, 7
	v_lshlrev_b32_e32 v139, 2, v3
	v_add_u32_e32 v3, 0x80, v117
	v_add_u32_e32 v64, s42, v62
	;; [unrolled: 1-line block ×3, first 2 shown]
	v_mov_b32_e32 v148, 0
	v_or_b32_e32 v123, 16, v32
	v_add_f32_e32 v131, v9, v9
	v_add_f32_e32 v132, v11, v11
	;; [unrolled: 1-line block ×4, first 2 shown]
	s_mul_i32 s44, s38, s42
	s_mul_i32 s45, s38, s26
	v_cmp_eq_u32_e64 s[2:3], 3, v16
	v_ashrrev_i32_e32 v1, 31, v52
	v_cmp_eq_u32_e64 s[14:15], 0, v16
	v_cmp_eq_u32_e64 s[8:9], 1, v16
	v_cmp_eq_u32_e64 s[10:11], 2, v16
	v_lshlrev_b32_e32 v140, 1, v17
	v_lshrrev_b32_e32 v58, 5, v3
	v_and_b32_e32 v60, 28, v3
	v_mov_b32_e32 v20, 0xfeffffff
	s_mov_b32 s46, 0x1000706
	s_mov_b32 s47, 0x3f200000
	;; [unrolled: 1-line block ×5, first 2 shown]
	v_mov_b32_e32 v141, 0xbd5c1c4e
	v_mov_b32_e32 v142, 0x3e088382
	;; [unrolled: 1-line block ×3, first 2 shown]
	s_brev_b32 s51, -2
	v_mov_b32_e32 v144, 0x7f800000
	v_mov_b32_e32 v149, 0
	;; [unrolled: 1-line block ×5, first 2 shown]
	v_ashrrev_i32_e32 v3, 31, v54
	v_ashrrev_i32_e32 v5, 31, v62
	;; [unrolled: 1-line block ×4, first 2 shown]
	v_bfe_u32 v66, v107, 3, 27
	v_and_b32_e32 v68, 28, v117
	v_ashrrev_i32_e32 v11, 31, v70
	v_ashrrev_i32_e32 v13, 31, v72
	;; [unrolled: 1-line block ×31, first 2 shown]
                                        ; implicit-def: $vgpr145
.LBB27_15:                              ; =>This Inner Loop Header: Depth=1
	v_add_co_u32_e32 v16, vcc, s36, v52
	v_mov_b32_e32 v17, s43
	v_addc_co_u32_e32 v17, vcc, v17, v1, vcc
	v_add_co_u32_e32 v18, vcc, v16, v32
	v_addc_co_u32_e32 v19, vcc, 0, v17, vcc
	global_load_dword v21, v[18:19], off offset:6
	global_load_dword v22, v[16:17], off
	global_load_ushort v23, v[16:17], off offset:4
	s_waitcnt vmcnt(2)
	v_and_b32_e32 v26, 0xf0f0f0f, v21
	v_lshrrev_b32_e32 v21, 4, v21
	s_waitcnt vmcnt(0)
	v_perm_b32 v23, v22, v23, s46
	v_ashrrev_i32_e32 v24, v32, v23
	v_lshlrev_b32_e32 v25, 4, v24
	v_lshlrev_b32_e32 v27, 11, v24
	;; [unrolled: 1-line block ×4, first 2 shown]
	v_and_b32_e32 v28, 0x100000, v28
	v_and_b32_e32 v24, 0x10000000, v24
	;; [unrolled: 1-line block ×4, first 2 shown]
	v_or3_b32 v24, v24, v26, v28
	v_or3_b32 v24, v24, v25, v27
	v_mov_b32_e32 v25, 0
	v_dot4c_i32_i8_e32 v25, v24, v34
	v_ashrrev_i32_e32 v23, v123, v23
	v_lshlrev_b32_e32 v26, 11, v23
	v_lshlrev_b32_e32 v27, 18, v23
	v_cvt_f32_i32_e32 v24, v25
	v_lshlrev_b32_e32 v25, 4, v23
	v_lshlrev_b32_e32 v23, 25, v23
	v_and_b32_e32 v21, 0xf0f0f0f, v21
	v_and_b32_e32 v27, 0x100000, v27
	;; [unrolled: 1-line block ×5, first 2 shown]
	v_or3_b32 v21, v23, v21, v27
	v_or3_b32 v21, v21, v25, v26
	v_mov_b32_e32 v23, 0
	v_dot4c_i32_i8_e32 v23, v21, v35
	v_fma_f32 v24, v0, v24, -v121
	v_fma_mix_f32 v24, v24, v22, 0 op_sel_hi:[0,1,0]
	s_nop 0
	v_cvt_f32_i32_e32 v21, v23
	v_fma_f32 v21, v0, v21, -v121
	v_fma_mix_f32 v21, v21, v22, v24 op_sel_hi:[0,1,0]
	global_load_dword v22, v[18:19], off offset:28
	global_load_dword v23, v[16:17], off offset:22
	global_load_ushort v24, v[16:17], off offset:26
	s_waitcnt vmcnt(2)
	v_and_b32_e32 v27, 0xf0f0f0f, v22
	v_lshrrev_b32_e32 v22, 4, v22
	s_waitcnt vmcnt(0)
	v_perm_b32 v24, v23, v24, s46
	v_ashrrev_i32_e32 v25, v32, v24
	v_lshlrev_b32_e32 v26, 4, v25
	v_lshlrev_b32_e32 v28, 11, v25
	v_lshlrev_b32_e32 v29, 18, v25
	v_lshlrev_b32_e32 v25, 25, v25
	v_and_b32_e32 v29, 0x100000, v29
	v_and_b32_e32 v25, 0x10000000, v25
	v_and_b32_e32 v26, 16, v26
	v_and_b32_e32 v28, 0x1000, v28
	v_or3_b32 v25, v25, v27, v29
	v_or3_b32 v25, v25, v26, v28
	v_mov_b32_e32 v26, 0
	v_dot4c_i32_i8_e32 v26, v25, v36
	v_ashrrev_i32_e32 v24, v123, v24
	v_lshlrev_b32_e32 v27, 18, v24
	v_and_b32_e32 v22, 0xf0f0f0f, v22
	v_cvt_f32_i32_e32 v25, v26
	v_lshlrev_b32_e32 v26, 11, v24
	v_and_b32_e32 v27, 0x100000, v27
	v_and_b32_e32 v26, 0x1000, v26
	v_fma_f32 v25, v2, v25, -v125
	v_fma_mix_f32 v21, v25, v23, v21 op_sel_hi:[0,1,0]
	v_lshlrev_b32_e32 v25, 4, v24
	v_lshlrev_b32_e32 v24, 25, v24
	v_and_b32_e32 v24, 0x10000000, v24
	v_and_b32_e32 v25, 16, v25
	v_or3_b32 v22, v24, v22, v27
	v_or3_b32 v22, v22, v25, v26
	v_mov_b32_e32 v24, 0
	v_dot4c_i32_i8_e32 v24, v22, v37
	s_nop 2
	v_cvt_f32_i32_e32 v22, v24
	v_fma_f32 v22, v2, v22, -v125
	v_fma_mix_f32 v21, v22, v23, v21 op_sel_hi:[0,1,0]
	global_load_dword v22, v[18:19], off offset:50
	global_load_dword v23, v[16:17], off offset:44
	global_load_ushort v24, v[16:17], off offset:48
	s_waitcnt vmcnt(2)
	v_and_b32_e32 v27, 0xf0f0f0f, v22
	v_lshrrev_b32_e32 v22, 4, v22
	s_waitcnt vmcnt(0)
	v_perm_b32 v24, v23, v24, s46
	v_ashrrev_i32_e32 v25, v32, v24
	v_lshlrev_b32_e32 v26, 4, v25
	v_lshlrev_b32_e32 v28, 11, v25
	v_lshlrev_b32_e32 v29, 18, v25
	v_lshlrev_b32_e32 v25, 25, v25
	v_and_b32_e32 v29, 0x100000, v29
	v_and_b32_e32 v25, 0x10000000, v25
	v_and_b32_e32 v26, 16, v26
	v_and_b32_e32 v28, 0x1000, v28
	v_or3_b32 v25, v25, v27, v29
	v_or3_b32 v25, v25, v26, v28
	v_mov_b32_e32 v26, 0
	v_dot4c_i32_i8_e32 v26, v25, v38
	v_ashrrev_i32_e32 v24, v123, v24
	v_lshlrev_b32_e32 v27, 18, v24
	v_and_b32_e32 v22, 0xf0f0f0f, v22
	v_cvt_f32_i32_e32 v25, v26
	v_lshlrev_b32_e32 v26, 11, v24
	v_and_b32_e32 v27, 0x100000, v27
	v_and_b32_e32 v26, 0x1000, v26
	v_fma_f32 v25, v4, v25, -v127
	v_fma_mix_f32 v21, v25, v23, v21 op_sel_hi:[0,1,0]
	v_lshlrev_b32_e32 v25, 4, v24
	v_lshlrev_b32_e32 v24, 25, v24
	v_and_b32_e32 v24, 0x10000000, v24
	v_and_b32_e32 v25, 16, v25
	v_or3_b32 v22, v24, v22, v27
	v_or3_b32 v22, v22, v25, v26
	v_mov_b32_e32 v24, 0
	v_dot4c_i32_i8_e32 v24, v22, v39
	;; [unrolled: 42-line block ×5, first 2 shown]
	s_nop 2
	v_cvt_f32_i32_e32 v22, v24
	v_fma_f32 v22, v10, v22, -v132
	v_fma_mix_f32 v21, v22, v23, v21 op_sel_hi:[0,1,0]
	global_load_dword v22, v[18:19], off offset:138
	global_load_dword v23, v[16:17], off offset:132
	global_load_ushort v24, v[16:17], off offset:136
	s_nop 0
	global_load_dword v18, v[18:19], off offset:160
	s_nop 0
	global_load_dword v19, v[16:17], off offset:154
	s_nop 0
	global_load_ushort v16, v[16:17], off offset:158
	s_waitcnt vmcnt(5)
	v_and_b32_e32 v27, 0xf0f0f0f, v22
	v_lshrrev_b32_e32 v22, 4, v22
	s_waitcnt vmcnt(3)
	v_perm_b32 v24, v23, v24, s46
	v_ashrrev_i32_e32 v25, v32, v24
	v_lshlrev_b32_e32 v26, 4, v25
	v_lshlrev_b32_e32 v28, 11, v25
	;; [unrolled: 1-line block ×4, first 2 shown]
	v_and_b32_e32 v29, 0x100000, v29
	v_and_b32_e32 v25, 0x10000000, v25
	;; [unrolled: 1-line block ×4, first 2 shown]
	v_or3_b32 v25, v25, v27, v29
	v_or3_b32 v25, v25, v26, v28
	v_mov_b32_e32 v26, 0
	v_dot4c_i32_i8_e32 v26, v25, v46
	v_ashrrev_i32_e32 v24, v123, v24
	v_lshlrev_b32_e32 v27, 18, v24
	v_and_b32_e32 v22, 0xf0f0f0f, v22
	v_cvt_f32_i32_e32 v25, v26
	v_lshlrev_b32_e32 v26, 11, v24
	v_and_b32_e32 v27, 0x100000, v27
	v_and_b32_e32 v26, 0x1000, v26
	v_fma_f32 v25, v12, v25, -v133
	v_fma_mix_f32 v21, v25, v23, v21 op_sel_hi:[0,1,0]
	v_lshlrev_b32_e32 v25, 4, v24
	v_lshlrev_b32_e32 v24, 25, v24
	v_and_b32_e32 v24, 0x10000000, v24
	v_and_b32_e32 v25, 16, v25
	v_or3_b32 v22, v24, v22, v27
	v_or3_b32 v22, v22, v25, v26
	v_mov_b32_e32 v24, 0
	v_dot4c_i32_i8_e32 v24, v22, v47
	s_waitcnt vmcnt(0)
	v_perm_b32 v16, v19, v16, s46
	v_ashrrev_i32_e32 v17, v32, v16
	v_lshlrev_b32_e32 v25, 18, v17
	v_cvt_f32_i32_e32 v22, v24
	v_lshlrev_b32_e32 v24, 11, v17
	v_and_b32_e32 v25, 0x100000, v25
	v_and_b32_e32 v24, 0x1000, v24
	v_fma_f32 v22, v12, v22, -v133
	v_fma_mix_f32 v21, v22, v23, v21 op_sel_hi:[0,1,0]
	v_lshlrev_b32_e32 v22, 4, v17
	v_lshlrev_b32_e32 v17, 25, v17
	v_and_b32_e32 v23, 0xf0f0f0f, v18
	v_and_b32_e32 v17, 0x10000000, v17
	;; [unrolled: 1-line block ×3, first 2 shown]
	v_or3_b32 v17, v17, v23, v25
	v_or3_b32 v17, v17, v22, v24
	v_mov_b32_e32 v22, 0
	v_dot4c_i32_i8_e32 v22, v17, v48
	v_ashrrev_i32_e32 v16, v123, v16
	v_lshrrev_b32_e32 v18, 4, v18
	v_lshlrev_b32_e32 v23, 18, v16
	v_cvt_f32_i32_e32 v17, v22
	v_lshlrev_b32_e32 v22, 11, v16
	v_and_b32_e32 v18, 0xf0f0f0f, v18
	v_and_b32_e32 v23, 0x100000, v23
	v_fma_f32 v17, v14, v17, -v134
	v_fma_mix_f32 v17, v17, v19, v21 op_sel_hi:[0,1,0]
	v_lshlrev_b32_e32 v21, 4, v16
	v_lshlrev_b32_e32 v16, 25, v16
	v_and_b32_e32 v16, 0x10000000, v16
	v_and_b32_e32 v21, 16, v21
	;; [unrolled: 1-line block ×3, first 2 shown]
	v_or3_b32 v16, v16, v18, v23
	v_or3_b32 v16, v16, v21, v22
	v_mov_b32_e32 v18, 0
	v_dot4c_i32_i8_e32 v18, v16, v49
	s_nop 2
	v_cvt_f32_i32_e32 v16, v18
	v_fma_f32 v16, v14, v16, -v134
	v_fma_mix_f32 v16, v16, v19, v17 op_sel_hi:[0,1,0]
	ds_bpermute_b32 v17, v135, v16
	s_waitcnt lgkmcnt(0)
	v_add_f32_e32 v16, v16, v17
	ds_bpermute_b32 v17, v136, v16
	s_waitcnt lgkmcnt(0)
	v_add_f32_e32 v16, v16, v17
	v_cmp_nlt_f32_e64 s[12:13], |v16|, s47
                                        ; implicit-def: $vgpr17
	s_and_saveexec_b64 s[26:27], s[12:13]
	s_xor_b64 s[12:13], exec, s[26:27]
	s_cbranch_execz .LBB27_17
; %bb.16:                               ;   in Loop: Header=BB27_15 Depth=1
	v_add_f32_e64 v17, |v16|, |v16|
	v_mul_f32_e32 v18, 0x3fb8aa3b, v17
	v_rndne_f32_e32 v19, v18
	v_sub_f32_e32 v21, v18, v19
	v_fma_f32 v18, v17, s48, -v18
	v_fmac_f32_e32 v18, 0x32a5705f, v17
	v_add_f32_e32 v18, v21, v18
	v_cvt_i32_f32_e32 v19, v19
	v_exp_f32_e32 v18, v18
	v_cmp_ngt_f32_e32 vcc, s49, v17
	v_ldexp_f32 v18, v18, v19
	v_cndmask_b32_e32 v18, 0, v18, vcc
	v_cmp_nlt_f32_e32 vcc, s50, v17
	v_cndmask_b32_e32 v17, v144, v18, vcc
	v_add_f32_e32 v17, 1.0, v17
	v_rcp_f32_e32 v17, v17
	v_fma_f32 v17, v17, -2.0, 1.0
.LBB27_17:                              ;   in Loop: Header=BB27_15 Depth=1
	s_andn2_saveexec_b64 s[12:13], s[12:13]
; %bb.18:                               ;   in Loop: Header=BB27_15 Depth=1
	v_mul_f32_e32 v17, v16, v16
	v_mov_b32_e32 v18, 0x3ca908c9
	v_fmac_f32_e32 v18, 0xbbbac73d, v17
	v_fma_f32 v18, v17, v18, v141
	v_fma_f32 v18, v17, v18, v142
	;; [unrolled: 1-line block ×3, first 2 shown]
	v_mul_f32_e64 v18, |v16|, v18
	v_fma_f32 v17, v17, v18, |v16|
; %bb.19:                               ;   in Loop: Header=BB27_15 Depth=1
	s_or_b64 exec, exec, s[12:13]
	v_bfi_b32 v16, s51, v17, v16
	v_mul_f32_e32 v21, s37, v16
	v_cndmask_b32_e64 v16, 0, 1, s[40:41]
	v_cmp_ne_u32_e64 s[12:13], 1, v16
	s_andn2_b64 vcc, exec, s[40:41]
	v_lshlrev_b32_e32 v22, 1, v50
	s_cbranch_vccnz .LBB27_21
; %bb.20:                               ;   in Loop: Header=BB27_15 Depth=1
	global_load_ushort v16, v22, s[24:25]
	s_waitcnt vmcnt(0)
	v_fma_mix_f32 v21, v111, v16, v21 op_sel_hi:[0,1,0]
.LBB27_21:                              ;   in Loop: Header=BB27_15 Depth=1
	v_add_co_u32_e32 v16, vcc, s36, v54
	v_mov_b32_e32 v17, s43
	v_addc_co_u32_e32 v17, vcc, v17, v3, vcc
	v_add_co_u32_e32 v18, vcc, v16, v32
	v_addc_co_u32_e32 v19, vcc, 0, v17, vcc
	global_load_dword v23, v[18:19], off offset:6
	global_load_dword v24, v[16:17], off
	global_load_ushort v25, v[16:17], off offset:4
	s_waitcnt vmcnt(2)
	v_and_b32_e32 v28, 0xf0f0f0f, v23
	v_lshrrev_b32_e32 v23, 4, v23
	s_waitcnt vmcnt(0)
	v_perm_b32 v25, v24, v25, s46
	v_ashrrev_i32_e32 v26, v32, v25
	v_lshlrev_b32_e32 v27, 4, v26
	v_lshlrev_b32_e32 v29, 11, v26
	;; [unrolled: 1-line block ×4, first 2 shown]
	v_and_b32_e32 v30, 0x100000, v30
	v_and_b32_e32 v26, 0x10000000, v26
	;; [unrolled: 1-line block ×4, first 2 shown]
	v_or3_b32 v26, v26, v28, v30
	v_or3_b32 v26, v26, v27, v29
	v_mov_b32_e32 v27, 0
	v_dot4c_i32_i8_e32 v27, v26, v34
	v_ashrrev_i32_e32 v25, v123, v25
	v_lshlrev_b32_e32 v28, 11, v25
	v_lshlrev_b32_e32 v29, 18, v25
	v_cvt_f32_i32_e32 v26, v27
	v_lshlrev_b32_e32 v27, 4, v25
	v_lshlrev_b32_e32 v25, 25, v25
	v_and_b32_e32 v23, 0xf0f0f0f, v23
	v_and_b32_e32 v29, 0x100000, v29
	;; [unrolled: 1-line block ×5, first 2 shown]
	v_or3_b32 v23, v25, v23, v29
	v_or3_b32 v23, v23, v27, v28
	v_mov_b32_e32 v25, 0
	v_dot4c_i32_i8_e32 v25, v23, v35
	v_fma_f32 v26, v0, v26, -v121
	v_fma_mix_f32 v26, v26, v24, 0 op_sel_hi:[0,1,0]
	s_nop 0
	v_cvt_f32_i32_e32 v23, v25
	v_fma_f32 v23, v0, v23, -v121
	v_fma_mix_f32 v23, v23, v24, v26 op_sel_hi:[0,1,0]
	global_load_dword v24, v[18:19], off offset:28
	global_load_dword v25, v[16:17], off offset:22
	global_load_ushort v26, v[16:17], off offset:26
	s_waitcnt vmcnt(2)
	v_and_b32_e32 v29, 0xf0f0f0f, v24
	v_lshrrev_b32_e32 v24, 4, v24
	s_waitcnt vmcnt(0)
	v_perm_b32 v26, v25, v26, s46
	v_ashrrev_i32_e32 v27, v32, v26
	v_lshlrev_b32_e32 v28, 4, v27
	v_lshlrev_b32_e32 v30, 11, v27
	v_lshlrev_b32_e32 v31, 18, v27
	v_lshlrev_b32_e32 v27, 25, v27
	v_and_b32_e32 v31, 0x100000, v31
	v_and_b32_e32 v27, 0x10000000, v27
	v_and_b32_e32 v28, 16, v28
	v_and_b32_e32 v30, 0x1000, v30
	v_or3_b32 v27, v27, v29, v31
	v_or3_b32 v27, v27, v28, v30
	v_mov_b32_e32 v28, 0
	v_dot4c_i32_i8_e32 v28, v27, v36
	v_ashrrev_i32_e32 v26, v123, v26
	v_lshlrev_b32_e32 v29, 18, v26
	v_and_b32_e32 v24, 0xf0f0f0f, v24
	v_cvt_f32_i32_e32 v27, v28
	v_lshlrev_b32_e32 v28, 11, v26
	v_and_b32_e32 v29, 0x100000, v29
	v_and_b32_e32 v28, 0x1000, v28
	v_fma_f32 v27, v2, v27, -v125
	v_fma_mix_f32 v23, v27, v25, v23 op_sel_hi:[0,1,0]
	v_lshlrev_b32_e32 v27, 4, v26
	v_lshlrev_b32_e32 v26, 25, v26
	v_and_b32_e32 v26, 0x10000000, v26
	v_and_b32_e32 v27, 16, v27
	v_or3_b32 v24, v26, v24, v29
	v_or3_b32 v24, v24, v27, v28
	v_mov_b32_e32 v26, 0
	v_dot4c_i32_i8_e32 v26, v24, v37
	s_nop 2
	v_cvt_f32_i32_e32 v24, v26
	v_fma_f32 v24, v2, v24, -v125
	v_fma_mix_f32 v23, v24, v25, v23 op_sel_hi:[0,1,0]
	global_load_dword v24, v[18:19], off offset:50
	global_load_dword v25, v[16:17], off offset:44
	global_load_ushort v26, v[16:17], off offset:48
	s_waitcnt vmcnt(2)
	v_and_b32_e32 v29, 0xf0f0f0f, v24
	v_lshrrev_b32_e32 v24, 4, v24
	s_waitcnt vmcnt(0)
	v_perm_b32 v26, v25, v26, s46
	v_ashrrev_i32_e32 v27, v32, v26
	v_lshlrev_b32_e32 v28, 4, v27
	v_lshlrev_b32_e32 v30, 11, v27
	v_lshlrev_b32_e32 v31, 18, v27
	v_lshlrev_b32_e32 v27, 25, v27
	v_and_b32_e32 v31, 0x100000, v31
	v_and_b32_e32 v27, 0x10000000, v27
	v_and_b32_e32 v28, 16, v28
	v_and_b32_e32 v30, 0x1000, v30
	v_or3_b32 v27, v27, v29, v31
	v_or3_b32 v27, v27, v28, v30
	v_mov_b32_e32 v28, 0
	v_dot4c_i32_i8_e32 v28, v27, v38
	v_ashrrev_i32_e32 v26, v123, v26
	v_lshlrev_b32_e32 v29, 18, v26
	v_and_b32_e32 v24, 0xf0f0f0f, v24
	v_cvt_f32_i32_e32 v27, v28
	v_lshlrev_b32_e32 v28, 11, v26
	v_and_b32_e32 v29, 0x100000, v29
	v_and_b32_e32 v28, 0x1000, v28
	v_fma_f32 v27, v4, v27, -v127
	v_fma_mix_f32 v23, v27, v25, v23 op_sel_hi:[0,1,0]
	v_lshlrev_b32_e32 v27, 4, v26
	v_lshlrev_b32_e32 v26, 25, v26
	v_and_b32_e32 v26, 0x10000000, v26
	v_and_b32_e32 v27, 16, v27
	v_or3_b32 v24, v26, v24, v29
	v_or3_b32 v24, v24, v27, v28
	v_mov_b32_e32 v26, 0
	v_dot4c_i32_i8_e32 v26, v24, v39
	;; [unrolled: 42-line block ×5, first 2 shown]
	s_nop 2
	v_cvt_f32_i32_e32 v24, v26
	v_fma_f32 v24, v10, v24, -v132
	v_fma_mix_f32 v23, v24, v25, v23 op_sel_hi:[0,1,0]
	global_load_dword v24, v[18:19], off offset:138
	global_load_dword v25, v[16:17], off offset:132
	global_load_ushort v26, v[16:17], off offset:136
	s_nop 0
	global_load_dword v18, v[18:19], off offset:160
	s_nop 0
	global_load_dword v19, v[16:17], off offset:154
	s_nop 0
	global_load_ushort v16, v[16:17], off offset:158
	s_waitcnt vmcnt(5)
	v_and_b32_e32 v29, 0xf0f0f0f, v24
	v_lshrrev_b32_e32 v24, 4, v24
	s_waitcnt vmcnt(3)
	v_perm_b32 v26, v25, v26, s46
	v_ashrrev_i32_e32 v27, v32, v26
	v_lshlrev_b32_e32 v28, 4, v27
	v_lshlrev_b32_e32 v30, 11, v27
	;; [unrolled: 1-line block ×4, first 2 shown]
	v_and_b32_e32 v31, 0x100000, v31
	v_and_b32_e32 v27, 0x10000000, v27
	;; [unrolled: 1-line block ×4, first 2 shown]
	v_or3_b32 v27, v27, v29, v31
	v_or3_b32 v27, v27, v28, v30
	v_mov_b32_e32 v28, 0
	v_dot4c_i32_i8_e32 v28, v27, v46
	v_ashrrev_i32_e32 v26, v123, v26
	v_lshlrev_b32_e32 v29, 18, v26
	v_and_b32_e32 v24, 0xf0f0f0f, v24
	v_cvt_f32_i32_e32 v27, v28
	v_lshlrev_b32_e32 v28, 11, v26
	v_and_b32_e32 v29, 0x100000, v29
	v_and_b32_e32 v28, 0x1000, v28
	v_fma_f32 v27, v12, v27, -v133
	v_fma_mix_f32 v23, v27, v25, v23 op_sel_hi:[0,1,0]
	v_lshlrev_b32_e32 v27, 4, v26
	v_lshlrev_b32_e32 v26, 25, v26
	v_and_b32_e32 v26, 0x10000000, v26
	v_and_b32_e32 v27, 16, v27
	v_or3_b32 v24, v26, v24, v29
	v_or3_b32 v24, v24, v27, v28
	v_mov_b32_e32 v26, 0
	v_dot4c_i32_i8_e32 v26, v24, v47
	s_waitcnt vmcnt(0)
	v_perm_b32 v16, v19, v16, s46
	v_ashrrev_i32_e32 v17, v32, v16
	v_lshlrev_b32_e32 v27, 18, v17
	v_cvt_f32_i32_e32 v24, v26
	v_lshlrev_b32_e32 v26, 11, v17
	v_and_b32_e32 v27, 0x100000, v27
	v_and_b32_e32 v26, 0x1000, v26
	v_fma_f32 v24, v12, v24, -v133
	v_fma_mix_f32 v23, v24, v25, v23 op_sel_hi:[0,1,0]
	v_lshlrev_b32_e32 v24, 4, v17
	v_lshlrev_b32_e32 v17, 25, v17
	v_and_b32_e32 v25, 0xf0f0f0f, v18
	v_and_b32_e32 v17, 0x10000000, v17
	v_and_b32_e32 v24, 16, v24
	v_or3_b32 v17, v17, v25, v27
	v_or3_b32 v17, v17, v24, v26
	v_mov_b32_e32 v24, 0
	v_dot4c_i32_i8_e32 v24, v17, v48
	v_ashrrev_i32_e32 v16, v123, v16
	v_lshrrev_b32_e32 v18, 4, v18
	v_lshlrev_b32_e32 v25, 18, v16
	v_cvt_f32_i32_e32 v17, v24
	v_lshlrev_b32_e32 v24, 11, v16
	v_and_b32_e32 v18, 0xf0f0f0f, v18
	v_and_b32_e32 v25, 0x100000, v25
	v_fma_f32 v17, v14, v17, -v134
	v_fma_mix_f32 v17, v17, v19, v23 op_sel_hi:[0,1,0]
	v_lshlrev_b32_e32 v23, 4, v16
	v_lshlrev_b32_e32 v16, 25, v16
	v_and_b32_e32 v16, 0x10000000, v16
	v_and_b32_e32 v23, 16, v23
	;; [unrolled: 1-line block ×3, first 2 shown]
	v_or3_b32 v16, v16, v18, v25
	v_or3_b32 v16, v16, v23, v24
	v_mov_b32_e32 v18, 0
	v_dot4c_i32_i8_e32 v18, v16, v49
	s_nop 2
	v_cvt_f32_i32_e32 v16, v18
	v_fma_f32 v16, v14, v16, -v134
	v_fma_mix_f32 v16, v16, v19, v17 op_sel_hi:[0,1,0]
	ds_bpermute_b32 v17, v135, v16
	s_waitcnt lgkmcnt(0)
	v_add_f32_e32 v16, v16, v17
	ds_bpermute_b32 v17, v136, v16
	s_waitcnt lgkmcnt(0)
	v_add_f32_e32 v16, v16, v17
	v_cmp_nlt_f32_e64 s[26:27], |v16|, s47
                                        ; implicit-def: $vgpr17
	s_and_saveexec_b64 s[52:53], s[26:27]
	s_xor_b64 s[26:27], exec, s[52:53]
	s_cbranch_execz .LBB27_23
; %bb.22:                               ;   in Loop: Header=BB27_15 Depth=1
	v_add_f32_e64 v17, |v16|, |v16|
	v_mul_f32_e32 v18, 0x3fb8aa3b, v17
	v_rndne_f32_e32 v19, v18
	v_sub_f32_e32 v23, v18, v19
	v_fma_f32 v18, v17, s48, -v18
	v_fmac_f32_e32 v18, 0x32a5705f, v17
	v_add_f32_e32 v18, v23, v18
	v_cvt_i32_f32_e32 v19, v19
	v_exp_f32_e32 v18, v18
	v_cmp_ngt_f32_e32 vcc, s49, v17
	v_ldexp_f32 v18, v18, v19
	v_cndmask_b32_e32 v18, 0, v18, vcc
	v_cmp_nlt_f32_e32 vcc, s50, v17
	v_cndmask_b32_e32 v17, v144, v18, vcc
	v_add_f32_e32 v17, 1.0, v17
	v_rcp_f32_e32 v17, v17
	v_fma_f32 v17, v17, -2.0, 1.0
.LBB27_23:                              ;   in Loop: Header=BB27_15 Depth=1
	s_andn2_saveexec_b64 s[26:27], s[26:27]
; %bb.24:                               ;   in Loop: Header=BB27_15 Depth=1
	v_mul_f32_e32 v17, v16, v16
	v_mov_b32_e32 v18, 0x3ca908c9
	v_fmac_f32_e32 v18, 0xbbbac73d, v17
	v_fma_f32 v18, v17, v18, v141
	v_fma_f32 v18, v17, v18, v142
	;; [unrolled: 1-line block ×3, first 2 shown]
	v_mul_f32_e64 v18, |v16|, v18
	v_fma_f32 v17, v17, v18, |v16|
; %bb.25:                               ;   in Loop: Header=BB27_15 Depth=1
	s_or_b64 exec, exec, s[26:27]
	v_bfi_b32 v16, s51, v17, v16
	s_and_b64 vcc, exec, s[12:13]
	v_mul_f32_e32 v23, s37, v16
	s_cbranch_vccnz .LBB27_27
; %bb.26:                               ;   in Loop: Header=BB27_15 Depth=1
	global_load_ushort v16, v22, s[24:25] offset:2
	s_waitcnt vmcnt(0)
	v_fma_mix_f32 v23, v111, v16, v23 op_sel_hi:[0,1,0]
.LBB27_27:                              ;   in Loop: Header=BB27_15 Depth=1
	v_add_co_u32_e32 v16, vcc, s36, v62
	v_mov_b32_e32 v17, s43
	v_addc_co_u32_e32 v17, vcc, v17, v5, vcc
	v_add_co_u32_e32 v18, vcc, v16, v32
	v_addc_co_u32_e32 v19, vcc, 0, v17, vcc
	global_load_dword v24, v[18:19], off offset:6
	global_load_dword v25, v[16:17], off
	global_load_ushort v26, v[16:17], off offset:4
	s_waitcnt vmcnt(2)
	v_and_b32_e32 v29, 0xf0f0f0f, v24
	v_lshrrev_b32_e32 v24, 4, v24
	s_waitcnt vmcnt(0)
	v_perm_b32 v26, v25, v26, s46
	v_ashrrev_i32_e32 v27, v32, v26
	v_lshlrev_b32_e32 v28, 4, v27
	v_lshlrev_b32_e32 v30, 11, v27
	;; [unrolled: 1-line block ×4, first 2 shown]
	v_and_b32_e32 v31, 0x100000, v31
	v_and_b32_e32 v27, 0x10000000, v27
	;; [unrolled: 1-line block ×4, first 2 shown]
	v_or3_b32 v27, v27, v29, v31
	v_or3_b32 v27, v27, v28, v30
	v_mov_b32_e32 v28, 0
	v_dot4c_i32_i8_e32 v28, v27, v34
	v_ashrrev_i32_e32 v26, v123, v26
	v_lshlrev_b32_e32 v29, 11, v26
	v_lshlrev_b32_e32 v30, 18, v26
	v_cvt_f32_i32_e32 v27, v28
	v_lshlrev_b32_e32 v28, 4, v26
	v_lshlrev_b32_e32 v26, 25, v26
	v_and_b32_e32 v24, 0xf0f0f0f, v24
	v_and_b32_e32 v30, 0x100000, v30
	;; [unrolled: 1-line block ×5, first 2 shown]
	v_or3_b32 v24, v26, v24, v30
	v_or3_b32 v24, v24, v28, v29
	v_mov_b32_e32 v26, 0
	v_dot4c_i32_i8_e32 v26, v24, v35
	v_fma_f32 v27, v0, v27, -v121
	v_fma_mix_f32 v27, v27, v25, 0 op_sel_hi:[0,1,0]
	s_nop 0
	v_cvt_f32_i32_e32 v24, v26
	v_fma_f32 v24, v0, v24, -v121
	v_fma_mix_f32 v24, v24, v25, v27 op_sel_hi:[0,1,0]
	global_load_dword v25, v[18:19], off offset:28
	global_load_dword v26, v[16:17], off offset:22
	global_load_ushort v27, v[16:17], off offset:26
	s_waitcnt vmcnt(2)
	v_and_b32_e32 v30, 0xf0f0f0f, v25
	v_lshrrev_b32_e32 v25, 4, v25
	s_waitcnt vmcnt(0)
	v_perm_b32 v27, v26, v27, s46
	v_ashrrev_i32_e32 v28, v32, v27
	v_lshlrev_b32_e32 v29, 4, v28
	v_lshlrev_b32_e32 v31, 11, v28
	v_lshlrev_b32_e32 v146, 18, v28
	v_lshlrev_b32_e32 v28, 25, v28
	v_and_b32_e32 v146, 0x100000, v146
	v_and_b32_e32 v28, 0x10000000, v28
	v_and_b32_e32 v29, 16, v29
	v_and_b32_e32 v31, 0x1000, v31
	v_or3_b32 v28, v28, v30, v146
	v_or3_b32 v28, v28, v29, v31
	v_mov_b32_e32 v29, 0
	v_dot4c_i32_i8_e32 v29, v28, v36
	v_ashrrev_i32_e32 v27, v123, v27
	v_lshlrev_b32_e32 v30, 18, v27
	v_and_b32_e32 v25, 0xf0f0f0f, v25
	v_cvt_f32_i32_e32 v28, v29
	v_lshlrev_b32_e32 v29, 11, v27
	v_and_b32_e32 v30, 0x100000, v30
	v_and_b32_e32 v29, 0x1000, v29
	v_fma_f32 v28, v2, v28, -v125
	v_fma_mix_f32 v24, v28, v26, v24 op_sel_hi:[0,1,0]
	v_lshlrev_b32_e32 v28, 4, v27
	v_lshlrev_b32_e32 v27, 25, v27
	v_and_b32_e32 v27, 0x10000000, v27
	v_and_b32_e32 v28, 16, v28
	v_or3_b32 v25, v27, v25, v30
	v_or3_b32 v25, v25, v28, v29
	v_mov_b32_e32 v27, 0
	v_dot4c_i32_i8_e32 v27, v25, v37
	s_nop 2
	v_cvt_f32_i32_e32 v25, v27
	v_fma_f32 v25, v2, v25, -v125
	v_fma_mix_f32 v24, v25, v26, v24 op_sel_hi:[0,1,0]
	global_load_dword v25, v[18:19], off offset:50
	global_load_dword v26, v[16:17], off offset:44
	global_load_ushort v27, v[16:17], off offset:48
	s_waitcnt vmcnt(2)
	v_and_b32_e32 v30, 0xf0f0f0f, v25
	v_lshrrev_b32_e32 v25, 4, v25
	s_waitcnt vmcnt(0)
	v_perm_b32 v27, v26, v27, s46
	v_ashrrev_i32_e32 v28, v32, v27
	v_lshlrev_b32_e32 v29, 4, v28
	v_lshlrev_b32_e32 v31, 11, v28
	v_lshlrev_b32_e32 v146, 18, v28
	v_lshlrev_b32_e32 v28, 25, v28
	v_and_b32_e32 v146, 0x100000, v146
	v_and_b32_e32 v28, 0x10000000, v28
	v_and_b32_e32 v29, 16, v29
	v_and_b32_e32 v31, 0x1000, v31
	v_or3_b32 v28, v28, v30, v146
	v_or3_b32 v28, v28, v29, v31
	v_mov_b32_e32 v29, 0
	v_dot4c_i32_i8_e32 v29, v28, v38
	v_ashrrev_i32_e32 v27, v123, v27
	v_lshlrev_b32_e32 v30, 18, v27
	v_and_b32_e32 v25, 0xf0f0f0f, v25
	v_cvt_f32_i32_e32 v28, v29
	v_lshlrev_b32_e32 v29, 11, v27
	v_and_b32_e32 v30, 0x100000, v30
	v_and_b32_e32 v29, 0x1000, v29
	v_fma_f32 v28, v4, v28, -v127
	v_fma_mix_f32 v24, v28, v26, v24 op_sel_hi:[0,1,0]
	v_lshlrev_b32_e32 v28, 4, v27
	v_lshlrev_b32_e32 v27, 25, v27
	v_and_b32_e32 v27, 0x10000000, v27
	v_and_b32_e32 v28, 16, v28
	v_or3_b32 v25, v27, v25, v30
	v_or3_b32 v25, v25, v28, v29
	v_mov_b32_e32 v27, 0
	v_dot4c_i32_i8_e32 v27, v25, v39
	;; [unrolled: 42-line block ×5, first 2 shown]
	s_nop 2
	v_cvt_f32_i32_e32 v25, v27
	v_fma_f32 v25, v10, v25, -v132
	v_fma_mix_f32 v24, v25, v26, v24 op_sel_hi:[0,1,0]
	global_load_dword v25, v[18:19], off offset:138
	global_load_dword v26, v[16:17], off offset:132
	global_load_ushort v27, v[16:17], off offset:136
	s_nop 0
	global_load_dword v18, v[18:19], off offset:160
	s_nop 0
	global_load_dword v19, v[16:17], off offset:154
	s_nop 0
	global_load_ushort v16, v[16:17], off offset:158
	s_waitcnt vmcnt(5)
	v_and_b32_e32 v30, 0xf0f0f0f, v25
	v_lshrrev_b32_e32 v25, 4, v25
	s_waitcnt vmcnt(3)
	v_perm_b32 v27, v26, v27, s46
	v_ashrrev_i32_e32 v28, v32, v27
	v_lshlrev_b32_e32 v29, 4, v28
	v_lshlrev_b32_e32 v31, 11, v28
	;; [unrolled: 1-line block ×4, first 2 shown]
	v_and_b32_e32 v146, 0x100000, v146
	v_and_b32_e32 v28, 0x10000000, v28
	;; [unrolled: 1-line block ×4, first 2 shown]
	v_or3_b32 v28, v28, v30, v146
	v_or3_b32 v28, v28, v29, v31
	v_mov_b32_e32 v29, 0
	v_dot4c_i32_i8_e32 v29, v28, v46
	v_ashrrev_i32_e32 v27, v123, v27
	v_lshlrev_b32_e32 v30, 18, v27
	v_and_b32_e32 v25, 0xf0f0f0f, v25
	v_cvt_f32_i32_e32 v28, v29
	v_lshlrev_b32_e32 v29, 11, v27
	v_and_b32_e32 v30, 0x100000, v30
	v_and_b32_e32 v29, 0x1000, v29
	v_fma_f32 v28, v12, v28, -v133
	v_fma_mix_f32 v24, v28, v26, v24 op_sel_hi:[0,1,0]
	v_lshlrev_b32_e32 v28, 4, v27
	v_lshlrev_b32_e32 v27, 25, v27
	v_and_b32_e32 v27, 0x10000000, v27
	v_and_b32_e32 v28, 16, v28
	v_or3_b32 v25, v27, v25, v30
	v_or3_b32 v25, v25, v28, v29
	v_mov_b32_e32 v27, 0
	v_dot4c_i32_i8_e32 v27, v25, v47
	s_waitcnt vmcnt(0)
	v_perm_b32 v16, v19, v16, s46
	v_ashrrev_i32_e32 v17, v32, v16
	v_lshlrev_b32_e32 v28, 18, v17
	v_cvt_f32_i32_e32 v25, v27
	v_lshlrev_b32_e32 v27, 11, v17
	v_and_b32_e32 v28, 0x100000, v28
	v_and_b32_e32 v27, 0x1000, v27
	v_fma_f32 v25, v12, v25, -v133
	v_fma_mix_f32 v24, v25, v26, v24 op_sel_hi:[0,1,0]
	v_lshlrev_b32_e32 v25, 4, v17
	v_lshlrev_b32_e32 v17, 25, v17
	v_and_b32_e32 v26, 0xf0f0f0f, v18
	v_and_b32_e32 v17, 0x10000000, v17
	;; [unrolled: 1-line block ×3, first 2 shown]
	v_or3_b32 v17, v17, v26, v28
	v_or3_b32 v17, v17, v25, v27
	v_mov_b32_e32 v25, 0
	v_dot4c_i32_i8_e32 v25, v17, v48
	v_ashrrev_i32_e32 v16, v123, v16
	v_lshrrev_b32_e32 v18, 4, v18
	v_lshlrev_b32_e32 v26, 18, v16
	v_cvt_f32_i32_e32 v17, v25
	v_lshlrev_b32_e32 v25, 11, v16
	v_and_b32_e32 v18, 0xf0f0f0f, v18
	v_and_b32_e32 v26, 0x100000, v26
	v_fma_f32 v17, v14, v17, -v134
	v_fma_mix_f32 v17, v17, v19, v24 op_sel_hi:[0,1,0]
	v_lshlrev_b32_e32 v24, 4, v16
	v_lshlrev_b32_e32 v16, 25, v16
	v_and_b32_e32 v16, 0x10000000, v16
	v_and_b32_e32 v24, 16, v24
	;; [unrolled: 1-line block ×3, first 2 shown]
	v_or3_b32 v16, v16, v18, v26
	v_or3_b32 v16, v16, v24, v25
	v_mov_b32_e32 v18, 0
	v_dot4c_i32_i8_e32 v18, v16, v49
	s_nop 2
	v_cvt_f32_i32_e32 v16, v18
	v_fma_f32 v16, v14, v16, -v134
	v_fma_mix_f32 v16, v16, v19, v17 op_sel_hi:[0,1,0]
	ds_bpermute_b32 v17, v135, v16
	s_waitcnt lgkmcnt(0)
	v_add_f32_e32 v16, v16, v17
	ds_bpermute_b32 v17, v136, v16
	s_waitcnt lgkmcnt(0)
	v_add_f32_e32 v16, v16, v17
	v_cmp_nlt_f32_e64 s[26:27], |v16|, s47
                                        ; implicit-def: $vgpr17
	s_and_saveexec_b64 s[52:53], s[26:27]
	s_xor_b64 s[26:27], exec, s[52:53]
	s_cbranch_execz .LBB27_29
; %bb.28:                               ;   in Loop: Header=BB27_15 Depth=1
	v_add_f32_e64 v17, |v16|, |v16|
	v_mul_f32_e32 v18, 0x3fb8aa3b, v17
	v_rndne_f32_e32 v19, v18
	v_sub_f32_e32 v24, v18, v19
	v_fma_f32 v18, v17, s48, -v18
	v_fmac_f32_e32 v18, 0x32a5705f, v17
	v_add_f32_e32 v18, v24, v18
	v_cvt_i32_f32_e32 v19, v19
	v_exp_f32_e32 v18, v18
	v_cmp_ngt_f32_e32 vcc, s49, v17
	v_ldexp_f32 v18, v18, v19
	v_cndmask_b32_e32 v18, 0, v18, vcc
	v_cmp_nlt_f32_e32 vcc, s50, v17
	v_cndmask_b32_e32 v17, v144, v18, vcc
	v_add_f32_e32 v17, 1.0, v17
	v_rcp_f32_e32 v17, v17
	v_fma_f32 v17, v17, -2.0, 1.0
.LBB27_29:                              ;   in Loop: Header=BB27_15 Depth=1
	s_andn2_saveexec_b64 s[26:27], s[26:27]
; %bb.30:                               ;   in Loop: Header=BB27_15 Depth=1
	v_mul_f32_e32 v17, v16, v16
	v_mov_b32_e32 v18, 0x3ca908c9
	v_fmac_f32_e32 v18, 0xbbbac73d, v17
	v_fma_f32 v18, v17, v18, v141
	v_fma_f32 v18, v17, v18, v142
	;; [unrolled: 1-line block ×3, first 2 shown]
	v_mul_f32_e64 v18, |v16|, v18
	v_fma_f32 v17, v17, v18, |v16|
; %bb.31:                               ;   in Loop: Header=BB27_15 Depth=1
	s_or_b64 exec, exec, s[26:27]
	v_bfi_b32 v16, s51, v17, v16
	s_and_b64 vcc, exec, s[12:13]
	v_mul_f32_e32 v24, s37, v16
	s_cbranch_vccnz .LBB27_33
; %bb.32:                               ;   in Loop: Header=BB27_15 Depth=1
	global_load_ushort v16, v22, s[24:25] offset:4
	s_waitcnt vmcnt(0)
	v_fma_mix_f32 v24, v111, v16, v24 op_sel_hi:[0,1,0]
.LBB27_33:                              ;   in Loop: Header=BB27_15 Depth=1
	v_add_co_u32_e32 v16, vcc, s36, v64
	v_mov_b32_e32 v17, s43
	v_addc_co_u32_e32 v17, vcc, v17, v7, vcc
	v_add_co_u32_e32 v18, vcc, v16, v32
	v_addc_co_u32_e32 v19, vcc, 0, v17, vcc
	global_load_dword v25, v[18:19], off offset:6
	global_load_dword v26, v[16:17], off
	global_load_ushort v27, v[16:17], off offset:4
	s_waitcnt vmcnt(2)
	v_and_b32_e32 v30, 0xf0f0f0f, v25
	v_lshrrev_b32_e32 v25, 4, v25
	s_waitcnt vmcnt(0)
	v_perm_b32 v27, v26, v27, s46
	v_ashrrev_i32_e32 v28, v32, v27
	v_lshlrev_b32_e32 v29, 4, v28
	v_lshlrev_b32_e32 v31, 11, v28
	;; [unrolled: 1-line block ×4, first 2 shown]
	v_and_b32_e32 v146, 0x100000, v146
	v_and_b32_e32 v28, 0x10000000, v28
	;; [unrolled: 1-line block ×4, first 2 shown]
	v_or3_b32 v28, v28, v30, v146
	v_or3_b32 v28, v28, v29, v31
	v_mov_b32_e32 v29, 0
	v_dot4c_i32_i8_e32 v29, v28, v34
	v_ashrrev_i32_e32 v27, v123, v27
	v_lshlrev_b32_e32 v30, 11, v27
	v_lshlrev_b32_e32 v31, 18, v27
	v_cvt_f32_i32_e32 v28, v29
	v_lshlrev_b32_e32 v29, 4, v27
	v_lshlrev_b32_e32 v27, 25, v27
	v_and_b32_e32 v25, 0xf0f0f0f, v25
	v_and_b32_e32 v31, 0x100000, v31
	;; [unrolled: 1-line block ×5, first 2 shown]
	v_or3_b32 v25, v27, v25, v31
	v_or3_b32 v25, v25, v29, v30
	v_mov_b32_e32 v27, 0
	v_dot4c_i32_i8_e32 v27, v25, v35
	v_fma_f32 v28, v0, v28, -v121
	v_fma_mix_f32 v28, v28, v26, 0 op_sel_hi:[0,1,0]
	s_nop 0
	v_cvt_f32_i32_e32 v25, v27
	v_fma_f32 v25, v0, v25, -v121
	v_fma_mix_f32 v25, v25, v26, v28 op_sel_hi:[0,1,0]
	global_load_dword v26, v[18:19], off offset:28
	global_load_dword v27, v[16:17], off offset:22
	global_load_ushort v28, v[16:17], off offset:26
	s_waitcnt vmcnt(2)
	v_and_b32_e32 v31, 0xf0f0f0f, v26
	v_lshrrev_b32_e32 v26, 4, v26
	s_waitcnt vmcnt(0)
	v_perm_b32 v28, v27, v28, s46
	v_ashrrev_i32_e32 v29, v32, v28
	v_lshlrev_b32_e32 v30, 4, v29
	v_lshlrev_b32_e32 v146, 11, v29
	v_lshlrev_b32_e32 v147, 18, v29
	v_lshlrev_b32_e32 v29, 25, v29
	v_and_b32_e32 v147, 0x100000, v147
	v_and_b32_e32 v29, 0x10000000, v29
	v_and_b32_e32 v30, 16, v30
	v_and_b32_e32 v146, 0x1000, v146
	v_or3_b32 v29, v29, v31, v147
	v_or3_b32 v29, v29, v30, v146
	v_mov_b32_e32 v30, 0
	v_dot4c_i32_i8_e32 v30, v29, v36
	v_ashrrev_i32_e32 v28, v123, v28
	v_lshlrev_b32_e32 v31, 18, v28
	v_and_b32_e32 v26, 0xf0f0f0f, v26
	v_cvt_f32_i32_e32 v29, v30
	v_lshlrev_b32_e32 v30, 11, v28
	v_and_b32_e32 v31, 0x100000, v31
	v_and_b32_e32 v30, 0x1000, v30
	v_fma_f32 v29, v2, v29, -v125
	v_fma_mix_f32 v25, v29, v27, v25 op_sel_hi:[0,1,0]
	v_lshlrev_b32_e32 v29, 4, v28
	v_lshlrev_b32_e32 v28, 25, v28
	v_and_b32_e32 v28, 0x10000000, v28
	v_and_b32_e32 v29, 16, v29
	v_or3_b32 v26, v28, v26, v31
	v_or3_b32 v26, v26, v29, v30
	v_mov_b32_e32 v28, 0
	v_dot4c_i32_i8_e32 v28, v26, v37
	s_nop 2
	v_cvt_f32_i32_e32 v26, v28
	v_fma_f32 v26, v2, v26, -v125
	v_fma_mix_f32 v25, v26, v27, v25 op_sel_hi:[0,1,0]
	global_load_dword v26, v[18:19], off offset:50
	global_load_dword v27, v[16:17], off offset:44
	global_load_ushort v28, v[16:17], off offset:48
	s_waitcnt vmcnt(2)
	v_and_b32_e32 v31, 0xf0f0f0f, v26
	v_lshrrev_b32_e32 v26, 4, v26
	s_waitcnt vmcnt(0)
	v_perm_b32 v28, v27, v28, s46
	v_ashrrev_i32_e32 v29, v32, v28
	v_lshlrev_b32_e32 v30, 4, v29
	v_lshlrev_b32_e32 v146, 11, v29
	v_lshlrev_b32_e32 v147, 18, v29
	v_lshlrev_b32_e32 v29, 25, v29
	v_and_b32_e32 v147, 0x100000, v147
	v_and_b32_e32 v29, 0x10000000, v29
	v_and_b32_e32 v30, 16, v30
	v_and_b32_e32 v146, 0x1000, v146
	v_or3_b32 v29, v29, v31, v147
	v_or3_b32 v29, v29, v30, v146
	v_mov_b32_e32 v30, 0
	v_dot4c_i32_i8_e32 v30, v29, v38
	v_ashrrev_i32_e32 v28, v123, v28
	v_lshlrev_b32_e32 v31, 18, v28
	v_and_b32_e32 v26, 0xf0f0f0f, v26
	v_cvt_f32_i32_e32 v29, v30
	v_lshlrev_b32_e32 v30, 11, v28
	v_and_b32_e32 v31, 0x100000, v31
	v_and_b32_e32 v30, 0x1000, v30
	v_fma_f32 v29, v4, v29, -v127
	v_fma_mix_f32 v25, v29, v27, v25 op_sel_hi:[0,1,0]
	v_lshlrev_b32_e32 v29, 4, v28
	v_lshlrev_b32_e32 v28, 25, v28
	v_and_b32_e32 v28, 0x10000000, v28
	v_and_b32_e32 v29, 16, v29
	v_or3_b32 v26, v28, v26, v31
	v_or3_b32 v26, v26, v29, v30
	v_mov_b32_e32 v28, 0
	v_dot4c_i32_i8_e32 v28, v26, v39
	;; [unrolled: 42-line block ×5, first 2 shown]
	s_nop 2
	v_cvt_f32_i32_e32 v26, v28
	v_fma_f32 v26, v10, v26, -v132
	v_fma_mix_f32 v25, v26, v27, v25 op_sel_hi:[0,1,0]
	global_load_dword v26, v[18:19], off offset:138
	global_load_dword v27, v[16:17], off offset:132
	global_load_ushort v28, v[16:17], off offset:136
	s_nop 0
	global_load_dword v18, v[18:19], off offset:160
	s_nop 0
	global_load_dword v19, v[16:17], off offset:154
	s_nop 0
	global_load_ushort v16, v[16:17], off offset:158
	s_waitcnt vmcnt(5)
	v_and_b32_e32 v31, 0xf0f0f0f, v26
	v_lshrrev_b32_e32 v26, 4, v26
	s_waitcnt vmcnt(3)
	v_perm_b32 v28, v27, v28, s46
	v_ashrrev_i32_e32 v29, v32, v28
	v_lshlrev_b32_e32 v30, 4, v29
	v_lshlrev_b32_e32 v146, 11, v29
	;; [unrolled: 1-line block ×4, first 2 shown]
	v_and_b32_e32 v147, 0x100000, v147
	v_and_b32_e32 v29, 0x10000000, v29
	;; [unrolled: 1-line block ×4, first 2 shown]
	v_or3_b32 v29, v29, v31, v147
	v_or3_b32 v29, v29, v30, v146
	v_mov_b32_e32 v30, 0
	v_dot4c_i32_i8_e32 v30, v29, v46
	v_ashrrev_i32_e32 v28, v123, v28
	v_lshlrev_b32_e32 v31, 18, v28
	v_and_b32_e32 v26, 0xf0f0f0f, v26
	v_cvt_f32_i32_e32 v29, v30
	v_lshlrev_b32_e32 v30, 11, v28
	v_and_b32_e32 v31, 0x100000, v31
	v_and_b32_e32 v30, 0x1000, v30
	v_fma_f32 v29, v12, v29, -v133
	v_fma_mix_f32 v25, v29, v27, v25 op_sel_hi:[0,1,0]
	v_lshlrev_b32_e32 v29, 4, v28
	v_lshlrev_b32_e32 v28, 25, v28
	v_and_b32_e32 v28, 0x10000000, v28
	v_and_b32_e32 v29, 16, v29
	v_or3_b32 v26, v28, v26, v31
	v_or3_b32 v26, v26, v29, v30
	v_mov_b32_e32 v28, 0
	v_dot4c_i32_i8_e32 v28, v26, v47
	s_waitcnt vmcnt(0)
	v_perm_b32 v16, v19, v16, s46
	v_ashrrev_i32_e32 v17, v32, v16
	v_lshlrev_b32_e32 v29, 18, v17
	v_cvt_f32_i32_e32 v26, v28
	v_lshlrev_b32_e32 v28, 11, v17
	v_and_b32_e32 v29, 0x100000, v29
	v_and_b32_e32 v28, 0x1000, v28
	v_fma_f32 v26, v12, v26, -v133
	v_fma_mix_f32 v25, v26, v27, v25 op_sel_hi:[0,1,0]
	v_lshlrev_b32_e32 v26, 4, v17
	v_lshlrev_b32_e32 v17, 25, v17
	v_and_b32_e32 v27, 0xf0f0f0f, v18
	v_and_b32_e32 v17, 0x10000000, v17
	;; [unrolled: 1-line block ×3, first 2 shown]
	v_or3_b32 v17, v17, v27, v29
	v_or3_b32 v17, v17, v26, v28
	v_mov_b32_e32 v26, 0
	v_dot4c_i32_i8_e32 v26, v17, v48
	v_ashrrev_i32_e32 v16, v123, v16
	v_lshrrev_b32_e32 v18, 4, v18
	v_lshlrev_b32_e32 v27, 18, v16
	v_cvt_f32_i32_e32 v17, v26
	v_lshlrev_b32_e32 v26, 11, v16
	v_and_b32_e32 v18, 0xf0f0f0f, v18
	v_and_b32_e32 v27, 0x100000, v27
	v_fma_f32 v17, v14, v17, -v134
	v_fma_mix_f32 v17, v17, v19, v25 op_sel_hi:[0,1,0]
	v_lshlrev_b32_e32 v25, 4, v16
	v_lshlrev_b32_e32 v16, 25, v16
	v_and_b32_e32 v16, 0x10000000, v16
	v_and_b32_e32 v25, 16, v25
	;; [unrolled: 1-line block ×3, first 2 shown]
	v_or3_b32 v16, v16, v18, v27
	v_or3_b32 v16, v16, v25, v26
	v_mov_b32_e32 v18, 0
	v_dot4c_i32_i8_e32 v18, v16, v49
	s_nop 2
	v_cvt_f32_i32_e32 v16, v18
	v_fma_f32 v16, v14, v16, -v134
	v_fma_mix_f32 v16, v16, v19, v17 op_sel_hi:[0,1,0]
	ds_bpermute_b32 v17, v135, v16
	s_waitcnt lgkmcnt(0)
	v_add_f32_e32 v16, v16, v17
	ds_bpermute_b32 v17, v136, v16
	s_waitcnt lgkmcnt(0)
	v_add_f32_e32 v16, v16, v17
	v_cmp_nlt_f32_e64 s[26:27], |v16|, s47
                                        ; implicit-def: $vgpr17
	s_and_saveexec_b64 s[52:53], s[26:27]
	s_xor_b64 s[26:27], exec, s[52:53]
	s_cbranch_execz .LBB27_35
; %bb.34:                               ;   in Loop: Header=BB27_15 Depth=1
	v_add_f32_e64 v17, |v16|, |v16|
	v_mul_f32_e32 v18, 0x3fb8aa3b, v17
	v_rndne_f32_e32 v19, v18
	v_sub_f32_e32 v25, v18, v19
	v_fma_f32 v18, v17, s48, -v18
	v_fmac_f32_e32 v18, 0x32a5705f, v17
	v_add_f32_e32 v18, v25, v18
	v_cvt_i32_f32_e32 v19, v19
	v_exp_f32_e32 v18, v18
	v_cmp_ngt_f32_e32 vcc, s49, v17
	v_ldexp_f32 v18, v18, v19
	v_cndmask_b32_e32 v18, 0, v18, vcc
	v_cmp_nlt_f32_e32 vcc, s50, v17
	v_cndmask_b32_e32 v17, v144, v18, vcc
	v_add_f32_e32 v17, 1.0, v17
	v_rcp_f32_e32 v17, v17
	v_fma_f32 v17, v17, -2.0, 1.0
.LBB27_35:                              ;   in Loop: Header=BB27_15 Depth=1
	s_andn2_saveexec_b64 s[26:27], s[26:27]
; %bb.36:                               ;   in Loop: Header=BB27_15 Depth=1
	v_mul_f32_e32 v17, v16, v16
	v_mov_b32_e32 v18, 0x3ca908c9
	v_fmac_f32_e32 v18, 0xbbbac73d, v17
	v_fma_f32 v18, v17, v18, v141
	v_fma_f32 v18, v17, v18, v142
	;; [unrolled: 1-line block ×3, first 2 shown]
	v_mul_f32_e64 v18, |v16|, v18
	v_fma_f32 v17, v17, v18, |v16|
; %bb.37:                               ;   in Loop: Header=BB27_15 Depth=1
	s_or_b64 exec, exec, s[26:27]
	v_bfi_b32 v16, s51, v17, v16
	s_and_b64 vcc, exec, s[12:13]
	v_mul_f32_e32 v16, s37, v16
	s_cbranch_vccnz .LBB27_39
; %bb.38:                               ;   in Loop: Header=BB27_15 Depth=1
	global_load_ushort v17, v22, s[24:25] offset:6
	s_waitcnt vmcnt(0)
	v_fma_mix_f32 v16, v111, v17, v16 op_sel_hi:[0,1,0]
.LBB27_39:                              ;   in Loop: Header=BB27_15 Depth=1
	v_add_f32_e32 v17, 0x40051340, v21
	v_add_f32_e32 v19, 0x40051340, v23
	v_cndmask_b32_e64 v18, v145, v21, s[14:15]
	v_max3_f32 v17, v20, v17, v19
	v_add_f32_e32 v19, 0x40051340, v24
	v_add_f32_e32 v21, 0x40051340, v16
	v_max3_f32 v17, v17, v19, v21
	ds_bpermute_b32 v19, v137, v17
	v_cndmask_b32_e64 v18, v18, v23, s[8:9]
	v_cndmask_b32_e64 v18, v18, v24, s[10:11]
	v_cndmask_b32_e64 v16, v18, v16, s[2:3]
	v_mov_b32_e32 v150, s35
	s_waitcnt lgkmcnt(0)
	v_max_f32_e32 v19, v19, v19
	v_max_f32_e32 v17, v17, v19
	ds_bpermute_b32 v19, v138, v17
	s_add_i32 s18, s38, s18
	s_add_u32 s36, s36, s44
	s_addc_u32 s43, s43, 0
	s_waitcnt lgkmcnt(0)
	v_max_f32_e32 v19, v19, v19
	v_max_f32_e32 v17, v17, v19
	ds_bpermute_b32 v19, v139, v17
	s_waitcnt lgkmcnt(0)
	v_max_f32_e32 v19, v19, v19
	v_max_f32_e32 v146, v17, v19
	v_sub_f32_e32 v17, v20, v146
	v_mul_f32_e32 v18, 0x3fb8aa3b, v17
	v_fma_f32 v19, v17, s48, -v18
	v_rndne_f32_e32 v20, v18
	v_fmac_f32_e32 v19, 0x32a5705f, v17
	v_sub_f32_e32 v18, v18, v20
	v_add_f32_e32 v18, v18, v19
	v_exp_f32_e32 v18, v18
	v_cvt_i32_f32_e32 v19, v20
	v_cmp_ngt_f32_e32 vcc, s49, v17
	v_sub_f32_e32 v16, v16, v146
	v_ldexp_f32 v18, v18, v19
	v_cndmask_b32_e32 v18, 0, v18, vcc
	v_cmp_nlt_f32_e32 vcc, s50, v17
	v_mul_f32_e32 v17, 0x3fb8aa3b, v16
	v_cndmask_b32_e32 v147, v144, v18, vcc
	v_fma_f32 v18, v16, s48, -v17
	v_rndne_f32_e32 v19, v17
	v_fmac_f32_e32 v18, 0x32a5705f, v16
	v_sub_f32_e32 v17, v17, v19
	v_add_f32_e32 v17, v17, v18
	v_exp_f32_e32 v17, v17
	v_cvt_i32_f32_e32 v18, v19
	v_cmp_ngt_f32_e32 vcc, s49, v16
	v_cvt_f16_f32_e32 v153, v147
	v_ldexp_f32 v17, v17, v18
	v_cndmask_b32_e32 v17, 0, v17, vcc
	v_cmp_nlt_f32_e32 vcc, s50, v16
	v_cndmask_b32_e32 v145, v144, v17, vcc
	v_cvt_f16_f32_e32 v16, v145
	v_add_co_u32_e32 v154, vcc, s19, v56
	v_addc_co_u32_e32 v155, vcc, v150, v9, vcc
	v_mad_u64_u32 v[156:157], s[12:13], v66, 34, v[154:155]
	v_add_co_u32_e32 v158, vcc, v156, v68
	ds_write_b16 v115, v16
	v_addc_co_u32_e32 v159, vcc, 0, v157, vcc
	ds_read_b128 v[28:31], v140
	ds_read_b128 v[24:27], v140 offset:16
	ds_read_b128 v[20:23], v140 offset:32
	;; [unrolled: 1-line block ×3, first 2 shown]
	global_load_dword v158, v[158:159], off offset:2
	v_fma_f32 v119, v119, v147, v145
	global_load_ushort v156, v[156:157], off
	s_waitcnt vmcnt(1)
	v_lshrrev_b32_e32 v159, 16, v158
	v_cvt_f16_i16_sdwa v157, sext(v158) dst_sel:DWORD dst_unused:UNUSED_PAD src0_sel:BYTE_0
	v_cvt_f16_i16_sdwa v158, sext(v158) dst_sel:DWORD dst_unused:UNUSED_PAD src0_sel:BYTE_1
	v_pack_b32_f16 v157, v157, v158
	v_cvt_f16_i16_sdwa v158, sext(v159) dst_sel:DWORD dst_unused:UNUSED_PAD src0_sel:BYTE_0
	v_cvt_f16_i16_sdwa v159, sext(v159) dst_sel:DWORD dst_unused:UNUSED_PAD src0_sel:BYTE_1
	s_waitcnt vmcnt(0)
	v_pk_mul_f16 v157, v157, v156 op_sel_hi:[1,0]
	v_pack_b32_f16 v158, v158, v159
	v_pk_mul_f16 v156, v156, v158 op_sel_hi:[0,1]
	s_waitcnt lgkmcnt(3)
	v_pk_mul_f16 v157, v28, v157 op_sel_hi:[0,1]
	v_pk_fma_f16 v157, v153, v148, v157 op_sel_hi:[0,1,1]
	v_pk_mul_f16 v148, v28, v156 op_sel_hi:[0,1]
	v_pk_fma_f16 v156, v153, v149, v148 op_sel_hi:[0,1,1]
	v_mad_u64_u32 v[148:149], s[12:13], v58, 34, v[154:155]
	v_add_co_u32_e32 v154, vcc, v148, v60
	v_addc_co_u32_e32 v155, vcc, 0, v149, vcc
	global_load_dword v154, v[154:155], off offset:2
	s_nop 0
	global_load_ushort v148, v[148:149], off
	s_waitcnt vmcnt(1)
	v_lshrrev_b32_e32 v155, 16, v154
	v_cvt_f16_i16_sdwa v149, sext(v154) dst_sel:DWORD dst_unused:UNUSED_PAD src0_sel:BYTE_0
	v_cvt_f16_i16_sdwa v154, sext(v154) dst_sel:DWORD dst_unused:UNUSED_PAD src0_sel:BYTE_1
	v_pack_b32_f16 v149, v149, v154
	v_cvt_f16_i16_sdwa v154, sext(v155) dst_sel:DWORD dst_unused:UNUSED_PAD src0_sel:BYTE_0
	v_cvt_f16_i16_sdwa v155, sext(v155) dst_sel:DWORD dst_unused:UNUSED_PAD src0_sel:BYTE_1
	v_pack_b32_f16 v154, v154, v155
	s_waitcnt vmcnt(0)
	v_pk_mul_f16 v149, v149, v148 op_sel_hi:[1,0]
	v_pk_mul_f16 v148, v148, v154 op_sel_hi:[0,1]
	;; [unrolled: 1-line block ×4, first 2 shown]
	v_pk_fma_f16 v151, v153, v151, v148 op_sel_hi:[0,1,1]
	v_add_co_u32_e32 v148, vcc, s19, v70
	v_pk_fma_f16 v158, v153, v152, v149 op_sel_hi:[0,1,1]
	v_addc_co_u32_e32 v149, vcc, v150, v11, vcc
	v_mad_u64_u32 v[152:153], s[12:13], v66, 34, v[148:149]
	v_add_co_u32_e32 v154, vcc, v152, v68
	v_addc_co_u32_e32 v155, vcc, 0, v153, vcc
	global_load_dword v154, v[154:155], off offset:2
	v_mad_u64_u32 v[148:149], s[12:13], v58, 34, v[148:149]
	global_load_ushort v152, v[152:153], off
	s_waitcnt vmcnt(1)
	v_lshrrev_b32_e32 v155, 16, v154
	v_cvt_f16_i16_sdwa v153, sext(v154) dst_sel:DWORD dst_unused:UNUSED_PAD src0_sel:BYTE_0
	v_cvt_f16_i16_sdwa v154, sext(v154) dst_sel:DWORD dst_unused:UNUSED_PAD src0_sel:BYTE_1
	v_pack_b32_f16 v153, v153, v154
	v_cvt_f16_i16_sdwa v154, sext(v155) dst_sel:DWORD dst_unused:UNUSED_PAD src0_sel:BYTE_0
	v_cvt_f16_i16_sdwa v155, sext(v155) dst_sel:DWORD dst_unused:UNUSED_PAD src0_sel:BYTE_1
	v_pack_b32_f16 v154, v154, v155
	s_waitcnt vmcnt(0)
	v_pk_mul_f16 v153, v153, v152 op_sel_hi:[1,0]
	v_pk_mul_f16 v152, v152, v154 op_sel_hi:[0,1]
	v_pk_fma_f16 v156, v28, v152, v156 op_sel:[1,0,0]
	v_add_co_u32_e32 v152, vcc, v148, v60
	v_pk_fma_f16 v157, v28, v153, v157 op_sel:[1,0,0]
	v_addc_co_u32_e32 v153, vcc, 0, v149, vcc
	global_load_dword v152, v[152:153], off offset:2
	s_nop 0
	global_load_ushort v148, v[148:149], off
	s_waitcnt vmcnt(1)
	v_lshrrev_b32_e32 v153, 16, v152
	v_cvt_f16_i16_sdwa v149, sext(v152) dst_sel:DWORD dst_unused:UNUSED_PAD src0_sel:BYTE_0
	v_cvt_f16_i16_sdwa v152, sext(v152) dst_sel:DWORD dst_unused:UNUSED_PAD src0_sel:BYTE_1
	v_pack_b32_f16 v149, v149, v152
	v_cvt_f16_i16_sdwa v152, sext(v153) dst_sel:DWORD dst_unused:UNUSED_PAD src0_sel:BYTE_0
	v_cvt_f16_i16_sdwa v153, sext(v153) dst_sel:DWORD dst_unused:UNUSED_PAD src0_sel:BYTE_1
	v_pack_b32_f16 v152, v152, v153
	s_waitcnt vmcnt(0)
	v_pk_mul_f16 v149, v149, v148 op_sel_hi:[1,0]
	v_pk_mul_f16 v148, v148, v152 op_sel_hi:[0,1]
	v_pk_fma_f16 v158, v28, v149, v158 op_sel:[1,0,0]
	v_pk_fma_f16 v28, v28, v148, v151 op_sel:[1,0,0]
	v_add_co_u32_e32 v148, vcc, s19, v72
	v_addc_co_u32_e32 v149, vcc, v150, v13, vcc
	v_mad_u64_u32 v[152:153], s[12:13], v66, 34, v[148:149]
	v_add_co_u32_e32 v154, vcc, v152, v68
	v_addc_co_u32_e32 v155, vcc, 0, v153, vcc
	global_load_dword v151, v[154:155], off offset:2
	v_mad_u64_u32 v[148:149], s[12:13], v58, 34, v[148:149]
	global_load_ushort v152, v[152:153], off
	s_waitcnt vmcnt(1)
	v_lshrrev_b32_e32 v154, 16, v151
	v_cvt_f16_i16_sdwa v153, sext(v151) dst_sel:DWORD dst_unused:UNUSED_PAD src0_sel:BYTE_0
	v_cvt_f16_i16_sdwa v151, sext(v151) dst_sel:DWORD dst_unused:UNUSED_PAD src0_sel:BYTE_1
	v_pack_b32_f16 v151, v153, v151
	v_cvt_f16_i16_sdwa v153, sext(v154) dst_sel:DWORD dst_unused:UNUSED_PAD src0_sel:BYTE_0
	v_cvt_f16_i16_sdwa v154, sext(v154) dst_sel:DWORD dst_unused:UNUSED_PAD src0_sel:BYTE_1
	v_pack_b32_f16 v153, v153, v154
	s_waitcnt vmcnt(0)
	v_pk_mul_f16 v151, v151, v152 op_sel_hi:[1,0]
	v_pk_mul_f16 v152, v152, v153 op_sel_hi:[0,1]
	v_pk_fma_f16 v156, v29, v152, v156 op_sel_hi:[0,1,1]
	v_add_co_u32_e32 v152, vcc, v148, v60
	v_addc_co_u32_e32 v153, vcc, 0, v149, vcc
	global_load_dword v152, v[152:153], off offset:2
	v_pk_fma_f16 v151, v29, v151, v157 op_sel_hi:[0,1,1]
	global_load_ushort v148, v[148:149], off
	s_waitcnt vmcnt(1)
	v_lshrrev_b32_e32 v153, 16, v152
	v_cvt_f16_i16_sdwa v149, sext(v152) dst_sel:DWORD dst_unused:UNUSED_PAD src0_sel:BYTE_0
	v_cvt_f16_i16_sdwa v152, sext(v152) dst_sel:DWORD dst_unused:UNUSED_PAD src0_sel:BYTE_1
	v_pack_b32_f16 v149, v149, v152
	v_cvt_f16_i16_sdwa v152, sext(v153) dst_sel:DWORD dst_unused:UNUSED_PAD src0_sel:BYTE_0
	v_cvt_f16_i16_sdwa v153, sext(v153) dst_sel:DWORD dst_unused:UNUSED_PAD src0_sel:BYTE_1
	v_pack_b32_f16 v152, v152, v153
	s_waitcnt vmcnt(0)
	v_pk_mul_f16 v149, v149, v148 op_sel_hi:[1,0]
	v_pk_mul_f16 v148, v148, v152 op_sel_hi:[0,1]
	v_pk_fma_f16 v28, v29, v148, v28 op_sel_hi:[0,1,1]
	v_add_co_u32_e32 v148, vcc, s19, v74
	v_pk_fma_f16 v157, v29, v149, v158 op_sel_hi:[0,1,1]
	v_addc_co_u32_e32 v149, vcc, v150, v15, vcc
	v_mad_u64_u32 v[152:153], s[12:13], v66, 34, v[148:149]
	v_add_co_u32_e32 v154, vcc, v152, v68
	v_addc_co_u32_e32 v155, vcc, 0, v153, vcc
	global_load_dword v154, v[154:155], off offset:2
	v_mad_u64_u32 v[148:149], s[12:13], v58, 34, v[148:149]
	global_load_ushort v152, v[152:153], off
	s_waitcnt vmcnt(1)
	v_lshrrev_b32_e32 v155, 16, v154
	v_cvt_f16_i16_sdwa v153, sext(v154) dst_sel:DWORD dst_unused:UNUSED_PAD src0_sel:BYTE_0
	v_cvt_f16_i16_sdwa v154, sext(v154) dst_sel:DWORD dst_unused:UNUSED_PAD src0_sel:BYTE_1
	v_pack_b32_f16 v153, v153, v154
	v_cvt_f16_i16_sdwa v154, sext(v155) dst_sel:DWORD dst_unused:UNUSED_PAD src0_sel:BYTE_0
	v_cvt_f16_i16_sdwa v155, sext(v155) dst_sel:DWORD dst_unused:UNUSED_PAD src0_sel:BYTE_1
	v_pack_b32_f16 v154, v154, v155
	s_waitcnt vmcnt(0)
	v_pk_mul_f16 v153, v153, v152 op_sel_hi:[1,0]
	v_pk_mul_f16 v152, v152, v154 op_sel_hi:[0,1]
	v_pk_fma_f16 v154, v29, v152, v156 op_sel:[1,0,0]
	v_add_co_u32_e32 v152, vcc, v148, v60
	v_pk_fma_f16 v151, v29, v153, v151 op_sel:[1,0,0]
	v_addc_co_u32_e32 v153, vcc, 0, v149, vcc
	global_load_dword v152, v[152:153], off offset:2
	s_nop 0
	global_load_ushort v148, v[148:149], off
	s_waitcnt vmcnt(1)
	v_lshrrev_b32_e32 v153, 16, v152
	v_cvt_f16_i16_sdwa v149, sext(v152) dst_sel:DWORD dst_unused:UNUSED_PAD src0_sel:BYTE_0
	v_cvt_f16_i16_sdwa v152, sext(v152) dst_sel:DWORD dst_unused:UNUSED_PAD src0_sel:BYTE_1
	v_pack_b32_f16 v149, v149, v152
	v_cvt_f16_i16_sdwa v152, sext(v153) dst_sel:DWORD dst_unused:UNUSED_PAD src0_sel:BYTE_0
	v_cvt_f16_i16_sdwa v153, sext(v153) dst_sel:DWORD dst_unused:UNUSED_PAD src0_sel:BYTE_1
	v_pack_b32_f16 v152, v152, v153
	s_waitcnt vmcnt(0)
	v_pk_mul_f16 v149, v149, v148 op_sel_hi:[1,0]
	v_pk_mul_f16 v148, v148, v152 op_sel_hi:[0,1]
	v_pk_fma_f16 v156, v29, v148, v28 op_sel:[1,0,0]
	v_add_co_u32_e32 v28, vcc, s19, v76
	v_pk_fma_f16 v155, v29, v149, v157 op_sel:[1,0,0]
	v_addc_co_u32_e32 v29, vcc, v150, v33, vcc
	v_mad_u64_u32 v[148:149], s[12:13], v66, 34, v[28:29]
	v_add_co_u32_e32 v152, vcc, v148, v68
	v_addc_co_u32_e32 v153, vcc, 0, v149, vcc
	global_load_dword v152, v[152:153], off offset:2
	v_mad_u64_u32 v[28:29], s[12:13], v58, 34, v[28:29]
	global_load_ushort v148, v[148:149], off
	s_waitcnt vmcnt(1)
	v_lshrrev_b32_e32 v153, 16, v152
	v_cvt_f16_i16_sdwa v149, sext(v152) dst_sel:DWORD dst_unused:UNUSED_PAD src0_sel:BYTE_0
	v_cvt_f16_i16_sdwa v152, sext(v152) dst_sel:DWORD dst_unused:UNUSED_PAD src0_sel:BYTE_1
	v_pack_b32_f16 v149, v149, v152
	v_cvt_f16_i16_sdwa v152, sext(v153) dst_sel:DWORD dst_unused:UNUSED_PAD src0_sel:BYTE_0
	v_cvt_f16_i16_sdwa v153, sext(v153) dst_sel:DWORD dst_unused:UNUSED_PAD src0_sel:BYTE_1
	v_pack_b32_f16 v152, v152, v153
	s_waitcnt vmcnt(0)
	v_pk_mul_f16 v149, v149, v148 op_sel_hi:[1,0]
	v_pk_mul_f16 v148, v148, v152 op_sel_hi:[0,1]
	v_pk_fma_f16 v154, v30, v148, v154 op_sel_hi:[0,1,1]
	v_add_co_u32_e32 v148, vcc, v28, v60
	v_pk_fma_f16 v151, v30, v149, v151 op_sel_hi:[0,1,1]
	v_addc_co_u32_e32 v149, vcc, 0, v29, vcc
	global_load_dword v148, v[148:149], off offset:2
	s_nop 0
	global_load_ushort v28, v[28:29], off
	s_waitcnt vmcnt(1)
	v_lshrrev_b32_e32 v149, 16, v148
	v_cvt_f16_i16_sdwa v29, sext(v148) dst_sel:DWORD dst_unused:UNUSED_PAD src0_sel:BYTE_0
	v_cvt_f16_i16_sdwa v148, sext(v148) dst_sel:DWORD dst_unused:UNUSED_PAD src0_sel:BYTE_1
	v_pack_b32_f16 v29, v29, v148
	v_cvt_f16_i16_sdwa v148, sext(v149) dst_sel:DWORD dst_unused:UNUSED_PAD src0_sel:BYTE_0
	v_cvt_f16_i16_sdwa v149, sext(v149) dst_sel:DWORD dst_unused:UNUSED_PAD src0_sel:BYTE_1
	v_pack_b32_f16 v148, v148, v149
	s_waitcnt vmcnt(0)
	v_pk_mul_f16 v29, v29, v28 op_sel_hi:[1,0]
	v_pk_mul_f16 v28, v28, v148 op_sel_hi:[0,1]
	v_pk_fma_f16 v156, v30, v28, v156 op_sel_hi:[0,1,1]
	v_add_co_u32_e32 v28, vcc, s19, v78
	v_pk_fma_f16 v155, v30, v29, v155 op_sel_hi:[0,1,1]
	v_addc_co_u32_e32 v29, vcc, v150, v51, vcc
	v_mad_u64_u32 v[148:149], s[12:13], v66, 34, v[28:29]
	v_add_co_u32_e32 v152, vcc, v148, v68
	v_addc_co_u32_e32 v153, vcc, 0, v149, vcc
	global_load_dword v152, v[152:153], off offset:2
	v_mad_u64_u32 v[28:29], s[12:13], v58, 34, v[28:29]
	global_load_ushort v148, v[148:149], off
	s_waitcnt vmcnt(1)
	v_lshrrev_b32_e32 v153, 16, v152
	v_cvt_f16_i16_sdwa v149, sext(v152) dst_sel:DWORD dst_unused:UNUSED_PAD src0_sel:BYTE_0
	v_cvt_f16_i16_sdwa v152, sext(v152) dst_sel:DWORD dst_unused:UNUSED_PAD src0_sel:BYTE_1
	v_pack_b32_f16 v149, v149, v152
	v_cvt_f16_i16_sdwa v152, sext(v153) dst_sel:DWORD dst_unused:UNUSED_PAD src0_sel:BYTE_0
	v_cvt_f16_i16_sdwa v153, sext(v153) dst_sel:DWORD dst_unused:UNUSED_PAD src0_sel:BYTE_1
	v_pack_b32_f16 v152, v152, v153
	s_waitcnt vmcnt(0)
	v_pk_mul_f16 v149, v149, v148 op_sel_hi:[1,0]
	v_pk_mul_f16 v148, v148, v152 op_sel_hi:[0,1]
	v_pk_fma_f16 v154, v30, v148, v154 op_sel:[1,0,0]
	v_add_co_u32_e32 v148, vcc, v28, v60
	v_pk_fma_f16 v151, v30, v149, v151 op_sel:[1,0,0]
	v_addc_co_u32_e32 v149, vcc, 0, v29, vcc
	global_load_dword v148, v[148:149], off offset:2
	s_nop 0
	global_load_ushort v28, v[28:29], off
	s_waitcnt vmcnt(1)
	v_lshrrev_b32_e32 v149, 16, v148
	v_cvt_f16_i16_sdwa v29, sext(v148) dst_sel:DWORD dst_unused:UNUSED_PAD src0_sel:BYTE_0
	v_cvt_f16_i16_sdwa v148, sext(v148) dst_sel:DWORD dst_unused:UNUSED_PAD src0_sel:BYTE_1
	v_pack_b32_f16 v29, v29, v148
	v_cvt_f16_i16_sdwa v148, sext(v149) dst_sel:DWORD dst_unused:UNUSED_PAD src0_sel:BYTE_0
	v_cvt_f16_i16_sdwa v149, sext(v149) dst_sel:DWORD dst_unused:UNUSED_PAD src0_sel:BYTE_1
	v_pack_b32_f16 v148, v148, v149
	s_waitcnt vmcnt(0)
	v_pk_mul_f16 v29, v29, v28 op_sel_hi:[1,0]
	v_pk_mul_f16 v28, v28, v148 op_sel_hi:[0,1]
	v_pk_fma_f16 v155, v30, v29, v155 op_sel:[1,0,0]
	v_pk_fma_f16 v30, v30, v28, v156 op_sel:[1,0,0]
	v_add_co_u32_e32 v28, vcc, s19, v80
	v_addc_co_u32_e32 v29, vcc, v150, v53, vcc
	v_mad_u64_u32 v[148:149], s[12:13], v66, 34, v[28:29]
	v_add_co_u32_e32 v152, vcc, v148, v68
	v_addc_co_u32_e32 v153, vcc, 0, v149, vcc
	global_load_dword v152, v[152:153], off offset:2
	v_mad_u64_u32 v[28:29], s[12:13], v58, 34, v[28:29]
	global_load_ushort v148, v[148:149], off
	s_waitcnt vmcnt(1)
	v_lshrrev_b32_e32 v153, 16, v152
	v_cvt_f16_i16_sdwa v149, sext(v152) dst_sel:DWORD dst_unused:UNUSED_PAD src0_sel:BYTE_0
	v_cvt_f16_i16_sdwa v152, sext(v152) dst_sel:DWORD dst_unused:UNUSED_PAD src0_sel:BYTE_1
	v_pack_b32_f16 v149, v149, v152
	v_cvt_f16_i16_sdwa v152, sext(v153) dst_sel:DWORD dst_unused:UNUSED_PAD src0_sel:BYTE_0
	v_cvt_f16_i16_sdwa v153, sext(v153) dst_sel:DWORD dst_unused:UNUSED_PAD src0_sel:BYTE_1
	v_pack_b32_f16 v152, v152, v153
	s_waitcnt vmcnt(0)
	v_pk_mul_f16 v149, v149, v148 op_sel_hi:[1,0]
	v_pk_mul_f16 v148, v148, v152 op_sel_hi:[0,1]
	v_pk_fma_f16 v154, v31, v148, v154 op_sel_hi:[0,1,1]
	v_add_co_u32_e32 v148, vcc, v28, v60
	v_pk_fma_f16 v151, v31, v149, v151 op_sel_hi:[0,1,1]
	v_addc_co_u32_e32 v149, vcc, 0, v29, vcc
	global_load_dword v148, v[148:149], off offset:2
	s_nop 0
	global_load_ushort v28, v[28:29], off
	s_waitcnt vmcnt(1)
	v_lshrrev_b32_e32 v149, 16, v148
	v_cvt_f16_i16_sdwa v29, sext(v148) dst_sel:DWORD dst_unused:UNUSED_PAD src0_sel:BYTE_0
	v_cvt_f16_i16_sdwa v148, sext(v148) dst_sel:DWORD dst_unused:UNUSED_PAD src0_sel:BYTE_1
	v_pack_b32_f16 v29, v29, v148
	v_cvt_f16_i16_sdwa v148, sext(v149) dst_sel:DWORD dst_unused:UNUSED_PAD src0_sel:BYTE_0
	v_cvt_f16_i16_sdwa v149, sext(v149) dst_sel:DWORD dst_unused:UNUSED_PAD src0_sel:BYTE_1
	v_pack_b32_f16 v148, v148, v149
	s_waitcnt vmcnt(0)
	v_pk_mul_f16 v29, v29, v28 op_sel_hi:[1,0]
	v_pk_mul_f16 v28, v28, v148 op_sel_hi:[0,1]
	v_pk_fma_f16 v30, v31, v28, v30 op_sel_hi:[0,1,1]
	v_add_co_u32_e32 v28, vcc, s19, v82
	v_pk_fma_f16 v155, v31, v29, v155 op_sel_hi:[0,1,1]
	v_addc_co_u32_e32 v29, vcc, v150, v55, vcc
	v_mad_u64_u32 v[148:149], s[12:13], v66, 34, v[28:29]
	v_add_co_u32_e32 v152, vcc, v148, v68
	v_addc_co_u32_e32 v153, vcc, 0, v149, vcc
	global_load_dword v152, v[152:153], off offset:2
	v_mad_u64_u32 v[28:29], s[12:13], v58, 34, v[28:29]
	global_load_ushort v148, v[148:149], off
	s_waitcnt vmcnt(1)
	v_lshrrev_b32_e32 v153, 16, v152
	v_cvt_f16_i16_sdwa v149, sext(v152) dst_sel:DWORD dst_unused:UNUSED_PAD src0_sel:BYTE_0
	v_cvt_f16_i16_sdwa v152, sext(v152) dst_sel:DWORD dst_unused:UNUSED_PAD src0_sel:BYTE_1
	v_pack_b32_f16 v149, v149, v152
	v_cvt_f16_i16_sdwa v152, sext(v153) dst_sel:DWORD dst_unused:UNUSED_PAD src0_sel:BYTE_0
	v_cvt_f16_i16_sdwa v153, sext(v153) dst_sel:DWORD dst_unused:UNUSED_PAD src0_sel:BYTE_1
	v_pack_b32_f16 v152, v152, v153
	s_waitcnt vmcnt(0)
	v_pk_mul_f16 v149, v149, v148 op_sel_hi:[1,0]
	v_pk_mul_f16 v148, v148, v152 op_sel_hi:[0,1]
	v_pk_fma_f16 v152, v31, v148, v154 op_sel:[1,0,0]
	v_add_co_u32_e32 v148, vcc, v28, v60
	v_pk_fma_f16 v151, v31, v149, v151 op_sel:[1,0,0]
	v_addc_co_u32_e32 v149, vcc, 0, v29, vcc
	global_load_dword v148, v[148:149], off offset:2
	s_nop 0
	global_load_ushort v28, v[28:29], off
	s_waitcnt vmcnt(1)
	v_lshrrev_b32_e32 v149, 16, v148
	v_cvt_f16_i16_sdwa v29, sext(v148) dst_sel:DWORD dst_unused:UNUSED_PAD src0_sel:BYTE_0
	v_cvt_f16_i16_sdwa v148, sext(v148) dst_sel:DWORD dst_unused:UNUSED_PAD src0_sel:BYTE_1
	v_pack_b32_f16 v29, v29, v148
	v_cvt_f16_i16_sdwa v148, sext(v149) dst_sel:DWORD dst_unused:UNUSED_PAD src0_sel:BYTE_0
	v_cvt_f16_i16_sdwa v149, sext(v149) dst_sel:DWORD dst_unused:UNUSED_PAD src0_sel:BYTE_1
	v_pack_b32_f16 v148, v148, v149
	s_waitcnt vmcnt(0)
	v_pk_mul_f16 v29, v29, v28 op_sel_hi:[1,0]
	v_pk_mul_f16 v28, v28, v148 op_sel_hi:[0,1]
	v_pk_fma_f16 v154, v31, v28, v30 op_sel:[1,0,0]
	v_add_co_u32_e32 v28, vcc, s19, v84
	v_pk_fma_f16 v153, v31, v29, v155 op_sel:[1,0,0]
	v_addc_co_u32_e32 v29, vcc, v150, v57, vcc
	v_mad_u64_u32 v[30:31], s[12:13], v66, 34, v[28:29]
	v_add_co_u32_e32 v148, vcc, v30, v68
	v_addc_co_u32_e32 v149, vcc, 0, v31, vcc
	global_load_dword v148, v[148:149], off offset:2
	v_mad_u64_u32 v[28:29], s[12:13], v58, 34, v[28:29]
	global_load_ushort v30, v[30:31], off
	s_waitcnt vmcnt(1)
	v_lshrrev_b32_e32 v149, 16, v148
	v_cvt_f16_i16_sdwa v31, sext(v148) dst_sel:DWORD dst_unused:UNUSED_PAD src0_sel:BYTE_0
	v_cvt_f16_i16_sdwa v148, sext(v148) dst_sel:DWORD dst_unused:UNUSED_PAD src0_sel:BYTE_1
	v_pack_b32_f16 v31, v31, v148
	v_cvt_f16_i16_sdwa v148, sext(v149) dst_sel:DWORD dst_unused:UNUSED_PAD src0_sel:BYTE_0
	v_cvt_f16_i16_sdwa v149, sext(v149) dst_sel:DWORD dst_unused:UNUSED_PAD src0_sel:BYTE_1
	v_pack_b32_f16 v148, v148, v149
	s_waitcnt vmcnt(0)
	v_pk_mul_f16 v31, v31, v30 op_sel_hi:[1,0]
	v_pk_mul_f16 v30, v30, v148 op_sel_hi:[0,1]
	s_waitcnt lgkmcnt(2)
	v_pk_fma_f16 v152, v24, v30, v152 op_sel_hi:[0,1,1]
	v_add_co_u32_e32 v30, vcc, v28, v60
	v_pk_fma_f16 v151, v24, v31, v151 op_sel_hi:[0,1,1]
	v_addc_co_u32_e32 v31, vcc, 0, v29, vcc
	global_load_dword v30, v[30:31], off offset:2
	s_nop 0
	global_load_ushort v28, v[28:29], off
	s_waitcnt vmcnt(1)
	v_lshrrev_b32_e32 v31, 16, v30
	v_cvt_f16_i16_sdwa v29, sext(v30) dst_sel:DWORD dst_unused:UNUSED_PAD src0_sel:BYTE_0
	v_cvt_f16_i16_sdwa v30, sext(v30) dst_sel:DWORD dst_unused:UNUSED_PAD src0_sel:BYTE_1
	v_pack_b32_f16 v29, v29, v30
	v_cvt_f16_i16_sdwa v30, sext(v31) dst_sel:DWORD dst_unused:UNUSED_PAD src0_sel:BYTE_0
	v_cvt_f16_i16_sdwa v31, sext(v31) dst_sel:DWORD dst_unused:UNUSED_PAD src0_sel:BYTE_1
	v_pack_b32_f16 v30, v30, v31
	s_waitcnt vmcnt(0)
	v_pk_mul_f16 v29, v29, v28 op_sel_hi:[1,0]
	v_pk_mul_f16 v28, v28, v30 op_sel_hi:[0,1]
	v_pk_fma_f16 v154, v24, v28, v154 op_sel_hi:[0,1,1]
	v_add_co_u32_e32 v28, vcc, s19, v86
	v_pk_fma_f16 v153, v24, v29, v153 op_sel_hi:[0,1,1]
	v_addc_co_u32_e32 v29, vcc, v150, v59, vcc
	v_mad_u64_u32 v[30:31], s[12:13], v66, 34, v[28:29]
	v_add_co_u32_e32 v148, vcc, v30, v68
	v_addc_co_u32_e32 v149, vcc, 0, v31, vcc
	global_load_dword v148, v[148:149], off offset:2
	v_mad_u64_u32 v[28:29], s[12:13], v58, 34, v[28:29]
	global_load_ushort v30, v[30:31], off
	s_waitcnt vmcnt(1)
	v_lshrrev_b32_e32 v149, 16, v148
	v_cvt_f16_i16_sdwa v31, sext(v148) dst_sel:DWORD dst_unused:UNUSED_PAD src0_sel:BYTE_0
	v_cvt_f16_i16_sdwa v148, sext(v148) dst_sel:DWORD dst_unused:UNUSED_PAD src0_sel:BYTE_1
	v_pack_b32_f16 v31, v31, v148
	v_cvt_f16_i16_sdwa v148, sext(v149) dst_sel:DWORD dst_unused:UNUSED_PAD src0_sel:BYTE_0
	v_cvt_f16_i16_sdwa v149, sext(v149) dst_sel:DWORD dst_unused:UNUSED_PAD src0_sel:BYTE_1
	v_pack_b32_f16 v148, v148, v149
	s_waitcnt vmcnt(0)
	v_pk_mul_f16 v31, v31, v30 op_sel_hi:[1,0]
	v_pk_mul_f16 v30, v30, v148 op_sel_hi:[0,1]
	v_pk_fma_f16 v152, v24, v30, v152 op_sel:[1,0,0]
	v_add_co_u32_e32 v30, vcc, v28, v60
	v_pk_fma_f16 v151, v24, v31, v151 op_sel:[1,0,0]
	v_addc_co_u32_e32 v31, vcc, 0, v29, vcc
	global_load_dword v30, v[30:31], off offset:2
	s_nop 0
	global_load_ushort v28, v[28:29], off
	s_waitcnt vmcnt(1)
	v_lshrrev_b32_e32 v31, 16, v30
	v_cvt_f16_i16_sdwa v29, sext(v30) dst_sel:DWORD dst_unused:UNUSED_PAD src0_sel:BYTE_0
	v_cvt_f16_i16_sdwa v30, sext(v30) dst_sel:DWORD dst_unused:UNUSED_PAD src0_sel:BYTE_1
	v_pack_b32_f16 v29, v29, v30
	v_cvt_f16_i16_sdwa v30, sext(v31) dst_sel:DWORD dst_unused:UNUSED_PAD src0_sel:BYTE_0
	v_cvt_f16_i16_sdwa v31, sext(v31) dst_sel:DWORD dst_unused:UNUSED_PAD src0_sel:BYTE_1
	v_pack_b32_f16 v30, v30, v31
	s_waitcnt vmcnt(0)
	v_pk_mul_f16 v29, v29, v28 op_sel_hi:[1,0]
	v_pk_mul_f16 v28, v28, v30 op_sel_hi:[0,1]
	v_pk_fma_f16 v153, v24, v29, v153 op_sel:[1,0,0]
	v_pk_fma_f16 v24, v24, v28, v154 op_sel:[1,0,0]
	v_add_co_u32_e32 v28, vcc, s19, v88
	v_addc_co_u32_e32 v29, vcc, v150, v61, vcc
	v_mad_u64_u32 v[30:31], s[12:13], v66, 34, v[28:29]
	v_add_co_u32_e32 v148, vcc, v30, v68
	v_addc_co_u32_e32 v149, vcc, 0, v31, vcc
	global_load_dword v148, v[148:149], off offset:2
	v_mad_u64_u32 v[28:29], s[12:13], v58, 34, v[28:29]
	global_load_ushort v30, v[30:31], off
	s_waitcnt vmcnt(1)
	v_lshrrev_b32_e32 v149, 16, v148
	v_cvt_f16_i16_sdwa v31, sext(v148) dst_sel:DWORD dst_unused:UNUSED_PAD src0_sel:BYTE_0
	v_cvt_f16_i16_sdwa v148, sext(v148) dst_sel:DWORD dst_unused:UNUSED_PAD src0_sel:BYTE_1
	v_pack_b32_f16 v31, v31, v148
	v_cvt_f16_i16_sdwa v148, sext(v149) dst_sel:DWORD dst_unused:UNUSED_PAD src0_sel:BYTE_0
	v_cvt_f16_i16_sdwa v149, sext(v149) dst_sel:DWORD dst_unused:UNUSED_PAD src0_sel:BYTE_1
	v_pack_b32_f16 v148, v148, v149
	s_waitcnt vmcnt(0)
	v_pk_mul_f16 v31, v31, v30 op_sel_hi:[1,0]
	v_pk_mul_f16 v30, v30, v148 op_sel_hi:[0,1]
	v_pk_fma_f16 v152, v25, v30, v152 op_sel_hi:[0,1,1]
	v_add_co_u32_e32 v30, vcc, v28, v60
	v_pk_fma_f16 v151, v25, v31, v151 op_sel_hi:[0,1,1]
	v_addc_co_u32_e32 v31, vcc, 0, v29, vcc
	global_load_dword v30, v[30:31], off offset:2
	s_nop 0
	global_load_ushort v28, v[28:29], off
	s_waitcnt vmcnt(1)
	v_lshrrev_b32_e32 v31, 16, v30
	v_cvt_f16_i16_sdwa v29, sext(v30) dst_sel:DWORD dst_unused:UNUSED_PAD src0_sel:BYTE_0
	v_cvt_f16_i16_sdwa v30, sext(v30) dst_sel:DWORD dst_unused:UNUSED_PAD src0_sel:BYTE_1
	v_pack_b32_f16 v29, v29, v30
	v_cvt_f16_i16_sdwa v30, sext(v31) dst_sel:DWORD dst_unused:UNUSED_PAD src0_sel:BYTE_0
	v_cvt_f16_i16_sdwa v31, sext(v31) dst_sel:DWORD dst_unused:UNUSED_PAD src0_sel:BYTE_1
	v_pack_b32_f16 v30, v30, v31
	s_waitcnt vmcnt(0)
	v_pk_mul_f16 v29, v29, v28 op_sel_hi:[1,0]
	v_pk_mul_f16 v28, v28, v30 op_sel_hi:[0,1]
	v_pk_fma_f16 v24, v25, v28, v24 op_sel_hi:[0,1,1]
	v_add_co_u32_e32 v28, vcc, s19, v90
	v_pk_fma_f16 v153, v25, v29, v153 op_sel_hi:[0,1,1]
	v_addc_co_u32_e32 v29, vcc, v150, v63, vcc
	v_mad_u64_u32 v[30:31], s[12:13], v66, 34, v[28:29]
	v_add_co_u32_e32 v148, vcc, v30, v68
	v_addc_co_u32_e32 v149, vcc, 0, v31, vcc
	global_load_dword v148, v[148:149], off offset:2
	v_mad_u64_u32 v[28:29], s[12:13], v58, 34, v[28:29]
	global_load_ushort v30, v[30:31], off
	s_waitcnt vmcnt(1)
	v_lshrrev_b32_e32 v149, 16, v148
	v_cvt_f16_i16_sdwa v31, sext(v148) dst_sel:DWORD dst_unused:UNUSED_PAD src0_sel:BYTE_0
	v_cvt_f16_i16_sdwa v148, sext(v148) dst_sel:DWORD dst_unused:UNUSED_PAD src0_sel:BYTE_1
	v_pack_b32_f16 v31, v31, v148
	v_cvt_f16_i16_sdwa v148, sext(v149) dst_sel:DWORD dst_unused:UNUSED_PAD src0_sel:BYTE_0
	v_cvt_f16_i16_sdwa v149, sext(v149) dst_sel:DWORD dst_unused:UNUSED_PAD src0_sel:BYTE_1
	v_pack_b32_f16 v148, v148, v149
	s_waitcnt vmcnt(0)
	v_pk_mul_f16 v31, v31, v30 op_sel_hi:[1,0]
	v_pk_mul_f16 v30, v30, v148 op_sel_hi:[0,1]
	v_pk_fma_f16 v149, v25, v30, v152 op_sel:[1,0,0]
	v_add_co_u32_e32 v30, vcc, v28, v60
	v_pk_fma_f16 v148, v25, v31, v151 op_sel:[1,0,0]
	v_addc_co_u32_e32 v31, vcc, 0, v29, vcc
	global_load_dword v30, v[30:31], off offset:2
	s_nop 0
	global_load_ushort v28, v[28:29], off
	s_waitcnt vmcnt(1)
	v_lshrrev_b32_e32 v31, 16, v30
	v_cvt_f16_i16_sdwa v29, sext(v30) dst_sel:DWORD dst_unused:UNUSED_PAD src0_sel:BYTE_0
	v_cvt_f16_i16_sdwa v30, sext(v30) dst_sel:DWORD dst_unused:UNUSED_PAD src0_sel:BYTE_1
	v_pack_b32_f16 v29, v29, v30
	v_cvt_f16_i16_sdwa v30, sext(v31) dst_sel:DWORD dst_unused:UNUSED_PAD src0_sel:BYTE_0
	v_cvt_f16_i16_sdwa v31, sext(v31) dst_sel:DWORD dst_unused:UNUSED_PAD src0_sel:BYTE_1
	v_pack_b32_f16 v30, v30, v31
	s_waitcnt vmcnt(0)
	v_pk_mul_f16 v29, v29, v28 op_sel_hi:[1,0]
	v_pk_mul_f16 v28, v28, v30 op_sel_hi:[0,1]
	v_pk_fma_f16 v152, v25, v28, v24 op_sel:[1,0,0]
	v_add_co_u32_e32 v24, vcc, s19, v92
	v_pk_fma_f16 v151, v25, v29, v153 op_sel:[1,0,0]
	v_addc_co_u32_e32 v25, vcc, v150, v65, vcc
	v_mad_u64_u32 v[28:29], s[12:13], v66, 34, v[24:25]
	v_add_co_u32_e32 v30, vcc, v28, v68
	v_addc_co_u32_e32 v31, vcc, 0, v29, vcc
	global_load_dword v30, v[30:31], off offset:2
	v_mad_u64_u32 v[24:25], s[12:13], v58, 34, v[24:25]
	global_load_ushort v28, v[28:29], off
	s_waitcnt vmcnt(1)
	v_lshrrev_b32_e32 v31, 16, v30
	v_cvt_f16_i16_sdwa v29, sext(v30) dst_sel:DWORD dst_unused:UNUSED_PAD src0_sel:BYTE_0
	v_cvt_f16_i16_sdwa v30, sext(v30) dst_sel:DWORD dst_unused:UNUSED_PAD src0_sel:BYTE_1
	v_pack_b32_f16 v29, v29, v30
	v_cvt_f16_i16_sdwa v30, sext(v31) dst_sel:DWORD dst_unused:UNUSED_PAD src0_sel:BYTE_0
	v_cvt_f16_i16_sdwa v31, sext(v31) dst_sel:DWORD dst_unused:UNUSED_PAD src0_sel:BYTE_1
	v_pack_b32_f16 v30, v30, v31
	s_waitcnt vmcnt(0)
	v_pk_mul_f16 v29, v29, v28 op_sel_hi:[1,0]
	v_pk_mul_f16 v28, v28, v30 op_sel_hi:[0,1]
	v_pk_fma_f16 v149, v26, v28, v149 op_sel_hi:[0,1,1]
	v_add_co_u32_e32 v28, vcc, v24, v60
	v_pk_fma_f16 v148, v26, v29, v148 op_sel_hi:[0,1,1]
	v_addc_co_u32_e32 v29, vcc, 0, v25, vcc
	global_load_dword v28, v[28:29], off offset:2
	s_nop 0
	global_load_ushort v24, v[24:25], off
	s_waitcnt vmcnt(1)
	v_lshrrev_b32_e32 v29, 16, v28
	v_cvt_f16_i16_sdwa v25, sext(v28) dst_sel:DWORD dst_unused:UNUSED_PAD src0_sel:BYTE_0
	v_cvt_f16_i16_sdwa v28, sext(v28) dst_sel:DWORD dst_unused:UNUSED_PAD src0_sel:BYTE_1
	v_pack_b32_f16 v25, v25, v28
	v_cvt_f16_i16_sdwa v28, sext(v29) dst_sel:DWORD dst_unused:UNUSED_PAD src0_sel:BYTE_0
	v_cvt_f16_i16_sdwa v29, sext(v29) dst_sel:DWORD dst_unused:UNUSED_PAD src0_sel:BYTE_1
	v_pack_b32_f16 v28, v28, v29
	s_waitcnt vmcnt(0)
	v_pk_mul_f16 v25, v25, v24 op_sel_hi:[1,0]
	v_pk_mul_f16 v24, v24, v28 op_sel_hi:[0,1]
	v_pk_fma_f16 v152, v26, v24, v152 op_sel_hi:[0,1,1]
	v_add_co_u32_e32 v24, vcc, s19, v94
	v_pk_fma_f16 v151, v26, v25, v151 op_sel_hi:[0,1,1]
	v_addc_co_u32_e32 v25, vcc, v150, v67, vcc
	v_mad_u64_u32 v[28:29], s[12:13], v66, 34, v[24:25]
	v_add_co_u32_e32 v30, vcc, v28, v68
	v_addc_co_u32_e32 v31, vcc, 0, v29, vcc
	global_load_dword v30, v[30:31], off offset:2
	v_mad_u64_u32 v[24:25], s[12:13], v58, 34, v[24:25]
	global_load_ushort v28, v[28:29], off
	s_waitcnt vmcnt(1)
	v_lshrrev_b32_e32 v31, 16, v30
	v_cvt_f16_i16_sdwa v29, sext(v30) dst_sel:DWORD dst_unused:UNUSED_PAD src0_sel:BYTE_0
	v_cvt_f16_i16_sdwa v30, sext(v30) dst_sel:DWORD dst_unused:UNUSED_PAD src0_sel:BYTE_1
	v_pack_b32_f16 v29, v29, v30
	v_cvt_f16_i16_sdwa v30, sext(v31) dst_sel:DWORD dst_unused:UNUSED_PAD src0_sel:BYTE_0
	v_cvt_f16_i16_sdwa v31, sext(v31) dst_sel:DWORD dst_unused:UNUSED_PAD src0_sel:BYTE_1
	v_pack_b32_f16 v30, v30, v31
	s_waitcnt vmcnt(0)
	v_pk_mul_f16 v29, v29, v28 op_sel_hi:[1,0]
	v_pk_mul_f16 v28, v28, v30 op_sel_hi:[0,1]
	v_pk_fma_f16 v149, v26, v28, v149 op_sel:[1,0,0]
	v_add_co_u32_e32 v28, vcc, v24, v60
	v_pk_fma_f16 v148, v26, v29, v148 op_sel:[1,0,0]
	v_addc_co_u32_e32 v29, vcc, 0, v25, vcc
	global_load_dword v28, v[28:29], off offset:2
	s_nop 0
	global_load_ushort v24, v[24:25], off
	s_waitcnt vmcnt(1)
	v_lshrrev_b32_e32 v29, 16, v28
	v_cvt_f16_i16_sdwa v25, sext(v28) dst_sel:DWORD dst_unused:UNUSED_PAD src0_sel:BYTE_0
	v_cvt_f16_i16_sdwa v28, sext(v28) dst_sel:DWORD dst_unused:UNUSED_PAD src0_sel:BYTE_1
	v_pack_b32_f16 v25, v25, v28
	v_cvt_f16_i16_sdwa v28, sext(v29) dst_sel:DWORD dst_unused:UNUSED_PAD src0_sel:BYTE_0
	v_cvt_f16_i16_sdwa v29, sext(v29) dst_sel:DWORD dst_unused:UNUSED_PAD src0_sel:BYTE_1
	v_pack_b32_f16 v28, v28, v29
	s_waitcnt vmcnt(0)
	v_pk_mul_f16 v25, v25, v24 op_sel_hi:[1,0]
	v_pk_mul_f16 v24, v24, v28 op_sel_hi:[0,1]
	v_pk_fma_f16 v151, v26, v25, v151 op_sel:[1,0,0]
	v_pk_fma_f16 v26, v26, v24, v152 op_sel:[1,0,0]
	v_add_co_u32_e32 v24, vcc, s19, v96
	v_addc_co_u32_e32 v25, vcc, v150, v69, vcc
	v_mad_u64_u32 v[28:29], s[12:13], v66, 34, v[24:25]
	v_add_co_u32_e32 v30, vcc, v28, v68
	v_addc_co_u32_e32 v31, vcc, 0, v29, vcc
	global_load_dword v30, v[30:31], off offset:2
	v_mad_u64_u32 v[24:25], s[12:13], v58, 34, v[24:25]
	global_load_ushort v28, v[28:29], off
	s_waitcnt vmcnt(1)
	v_lshrrev_b32_e32 v31, 16, v30
	v_cvt_f16_i16_sdwa v29, sext(v30) dst_sel:DWORD dst_unused:UNUSED_PAD src0_sel:BYTE_0
	v_cvt_f16_i16_sdwa v30, sext(v30) dst_sel:DWORD dst_unused:UNUSED_PAD src0_sel:BYTE_1
	v_pack_b32_f16 v29, v29, v30
	v_cvt_f16_i16_sdwa v30, sext(v31) dst_sel:DWORD dst_unused:UNUSED_PAD src0_sel:BYTE_0
	v_cvt_f16_i16_sdwa v31, sext(v31) dst_sel:DWORD dst_unused:UNUSED_PAD src0_sel:BYTE_1
	v_pack_b32_f16 v30, v30, v31
	s_waitcnt vmcnt(0)
	v_pk_mul_f16 v29, v29, v28 op_sel_hi:[1,0]
	v_pk_mul_f16 v28, v28, v30 op_sel_hi:[0,1]
	v_pk_fma_f16 v149, v27, v28, v149 op_sel_hi:[0,1,1]
	v_add_co_u32_e32 v28, vcc, v24, v60
	v_pk_fma_f16 v148, v27, v29, v148 op_sel_hi:[0,1,1]
	v_addc_co_u32_e32 v29, vcc, 0, v25, vcc
	global_load_dword v28, v[28:29], off offset:2
	s_nop 0
	global_load_ushort v24, v[24:25], off
	s_waitcnt vmcnt(1)
	v_lshrrev_b32_e32 v29, 16, v28
	v_cvt_f16_i16_sdwa v25, sext(v28) dst_sel:DWORD dst_unused:UNUSED_PAD src0_sel:BYTE_0
	v_cvt_f16_i16_sdwa v28, sext(v28) dst_sel:DWORD dst_unused:UNUSED_PAD src0_sel:BYTE_1
	v_pack_b32_f16 v25, v25, v28
	v_cvt_f16_i16_sdwa v28, sext(v29) dst_sel:DWORD dst_unused:UNUSED_PAD src0_sel:BYTE_0
	v_cvt_f16_i16_sdwa v29, sext(v29) dst_sel:DWORD dst_unused:UNUSED_PAD src0_sel:BYTE_1
	v_pack_b32_f16 v28, v28, v29
	s_waitcnt vmcnt(0)
	v_pk_mul_f16 v25, v25, v24 op_sel_hi:[1,0]
	v_pk_mul_f16 v24, v24, v28 op_sel_hi:[0,1]
	v_pk_fma_f16 v26, v27, v24, v26 op_sel_hi:[0,1,1]
	v_add_co_u32_e32 v24, vcc, s19, v98
	v_pk_fma_f16 v151, v27, v25, v151 op_sel_hi:[0,1,1]
	v_addc_co_u32_e32 v25, vcc, v150, v71, vcc
	v_mad_u64_u32 v[28:29], s[12:13], v66, 34, v[24:25]
	v_add_co_u32_e32 v30, vcc, v28, v68
	v_addc_co_u32_e32 v31, vcc, 0, v29, vcc
	global_load_dword v30, v[30:31], off offset:2
	v_mad_u64_u32 v[24:25], s[12:13], v58, 34, v[24:25]
	global_load_ushort v28, v[28:29], off
	s_waitcnt vmcnt(1)
	v_lshrrev_b32_e32 v31, 16, v30
	v_cvt_f16_i16_sdwa v29, sext(v30) dst_sel:DWORD dst_unused:UNUSED_PAD src0_sel:BYTE_0
	v_cvt_f16_i16_sdwa v30, sext(v30) dst_sel:DWORD dst_unused:UNUSED_PAD src0_sel:BYTE_1
	v_pack_b32_f16 v29, v29, v30
	v_cvt_f16_i16_sdwa v30, sext(v31) dst_sel:DWORD dst_unused:UNUSED_PAD src0_sel:BYTE_0
	v_cvt_f16_i16_sdwa v31, sext(v31) dst_sel:DWORD dst_unused:UNUSED_PAD src0_sel:BYTE_1
	v_pack_b32_f16 v30, v30, v31
	s_waitcnt vmcnt(0)
	v_pk_mul_f16 v29, v29, v28 op_sel_hi:[1,0]
	v_pk_mul_f16 v28, v28, v30 op_sel_hi:[0,1]
	v_pk_fma_f16 v31, v27, v28, v149 op_sel:[1,0,0]
	v_add_co_u32_e32 v28, vcc, v24, v60
	v_pk_fma_f16 v30, v27, v29, v148 op_sel:[1,0,0]
	v_addc_co_u32_e32 v29, vcc, 0, v25, vcc
	global_load_dword v28, v[28:29], off offset:2
	s_nop 0
	global_load_ushort v24, v[24:25], off
	s_waitcnt vmcnt(1)
	v_lshrrev_b32_e32 v29, 16, v28
	v_cvt_f16_i16_sdwa v25, sext(v28) dst_sel:DWORD dst_unused:UNUSED_PAD src0_sel:BYTE_0
	v_cvt_f16_i16_sdwa v28, sext(v28) dst_sel:DWORD dst_unused:UNUSED_PAD src0_sel:BYTE_1
	v_pack_b32_f16 v25, v25, v28
	v_cvt_f16_i16_sdwa v28, sext(v29) dst_sel:DWORD dst_unused:UNUSED_PAD src0_sel:BYTE_0
	v_cvt_f16_i16_sdwa v29, sext(v29) dst_sel:DWORD dst_unused:UNUSED_PAD src0_sel:BYTE_1
	v_pack_b32_f16 v28, v28, v29
	s_waitcnt vmcnt(0)
	v_pk_mul_f16 v25, v25, v24 op_sel_hi:[1,0]
	v_pk_mul_f16 v24, v24, v28 op_sel_hi:[0,1]
	v_pk_fma_f16 v149, v27, v24, v26 op_sel:[1,0,0]
	v_add_co_u32_e32 v24, vcc, s19, v100
	v_pk_fma_f16 v148, v27, v25, v151 op_sel:[1,0,0]
	v_addc_co_u32_e32 v25, vcc, v150, v73, vcc
	v_mad_u64_u32 v[26:27], s[12:13], v66, 34, v[24:25]
	v_add_co_u32_e32 v28, vcc, v26, v68
	v_addc_co_u32_e32 v29, vcc, 0, v27, vcc
	global_load_dword v28, v[28:29], off offset:2
	v_mad_u64_u32 v[24:25], s[12:13], v58, 34, v[24:25]
	global_load_ushort v26, v[26:27], off
	s_waitcnt vmcnt(1)
	v_lshrrev_b32_e32 v29, 16, v28
	v_cvt_f16_i16_sdwa v27, sext(v28) dst_sel:DWORD dst_unused:UNUSED_PAD src0_sel:BYTE_0
	v_cvt_f16_i16_sdwa v28, sext(v28) dst_sel:DWORD dst_unused:UNUSED_PAD src0_sel:BYTE_1
	v_pack_b32_f16 v27, v27, v28
	v_cvt_f16_i16_sdwa v28, sext(v29) dst_sel:DWORD dst_unused:UNUSED_PAD src0_sel:BYTE_0
	v_cvt_f16_i16_sdwa v29, sext(v29) dst_sel:DWORD dst_unused:UNUSED_PAD src0_sel:BYTE_1
	v_pack_b32_f16 v28, v28, v29
	s_waitcnt vmcnt(0)
	v_pk_mul_f16 v27, v27, v26 op_sel_hi:[1,0]
	v_pk_mul_f16 v26, v26, v28 op_sel_hi:[0,1]
	s_waitcnt lgkmcnt(1)
	v_pk_fma_f16 v31, v20, v26, v31 op_sel_hi:[0,1,1]
	v_add_co_u32_e32 v26, vcc, v24, v60
	v_pk_fma_f16 v30, v20, v27, v30 op_sel_hi:[0,1,1]
	v_addc_co_u32_e32 v27, vcc, 0, v25, vcc
	global_load_dword v26, v[26:27], off offset:2
	s_nop 0
	global_load_ushort v24, v[24:25], off
	s_waitcnt vmcnt(1)
	v_lshrrev_b32_e32 v27, 16, v26
	v_cvt_f16_i16_sdwa v25, sext(v26) dst_sel:DWORD dst_unused:UNUSED_PAD src0_sel:BYTE_0
	v_cvt_f16_i16_sdwa v26, sext(v26) dst_sel:DWORD dst_unused:UNUSED_PAD src0_sel:BYTE_1
	v_pack_b32_f16 v25, v25, v26
	v_cvt_f16_i16_sdwa v26, sext(v27) dst_sel:DWORD dst_unused:UNUSED_PAD src0_sel:BYTE_0
	v_cvt_f16_i16_sdwa v27, sext(v27) dst_sel:DWORD dst_unused:UNUSED_PAD src0_sel:BYTE_1
	v_pack_b32_f16 v26, v26, v27
	s_waitcnt vmcnt(0)
	v_pk_mul_f16 v25, v25, v24 op_sel_hi:[1,0]
	v_pk_mul_f16 v24, v24, v26 op_sel_hi:[0,1]
	v_pk_fma_f16 v149, v20, v24, v149 op_sel_hi:[0,1,1]
	v_add_co_u32_e32 v24, vcc, s19, v102
	v_pk_fma_f16 v148, v20, v25, v148 op_sel_hi:[0,1,1]
	v_addc_co_u32_e32 v25, vcc, v150, v75, vcc
	v_mad_u64_u32 v[26:27], s[12:13], v66, 34, v[24:25]
	v_add_co_u32_e32 v28, vcc, v26, v68
	v_addc_co_u32_e32 v29, vcc, 0, v27, vcc
	global_load_dword v28, v[28:29], off offset:2
	v_mad_u64_u32 v[24:25], s[12:13], v58, 34, v[24:25]
	global_load_ushort v26, v[26:27], off
	s_waitcnt vmcnt(1)
	v_lshrrev_b32_e32 v29, 16, v28
	v_cvt_f16_i16_sdwa v27, sext(v28) dst_sel:DWORD dst_unused:UNUSED_PAD src0_sel:BYTE_0
	v_cvt_f16_i16_sdwa v28, sext(v28) dst_sel:DWORD dst_unused:UNUSED_PAD src0_sel:BYTE_1
	v_pack_b32_f16 v27, v27, v28
	v_cvt_f16_i16_sdwa v28, sext(v29) dst_sel:DWORD dst_unused:UNUSED_PAD src0_sel:BYTE_0
	v_cvt_f16_i16_sdwa v29, sext(v29) dst_sel:DWORD dst_unused:UNUSED_PAD src0_sel:BYTE_1
	v_pack_b32_f16 v28, v28, v29
	s_waitcnt vmcnt(0)
	v_pk_mul_f16 v27, v27, v26 op_sel_hi:[1,0]
	v_pk_mul_f16 v26, v26, v28 op_sel_hi:[0,1]
	v_pk_fma_f16 v31, v20, v26, v31 op_sel:[1,0,0]
	v_add_co_u32_e32 v26, vcc, v24, v60
	v_pk_fma_f16 v30, v20, v27, v30 op_sel:[1,0,0]
	v_addc_co_u32_e32 v27, vcc, 0, v25, vcc
	global_load_dword v26, v[26:27], off offset:2
	s_nop 0
	global_load_ushort v24, v[24:25], off
	s_waitcnt vmcnt(1)
	v_lshrrev_b32_e32 v27, 16, v26
	v_cvt_f16_i16_sdwa v25, sext(v26) dst_sel:DWORD dst_unused:UNUSED_PAD src0_sel:BYTE_0
	v_cvt_f16_i16_sdwa v26, sext(v26) dst_sel:DWORD dst_unused:UNUSED_PAD src0_sel:BYTE_1
	v_pack_b32_f16 v25, v25, v26
	v_cvt_f16_i16_sdwa v26, sext(v27) dst_sel:DWORD dst_unused:UNUSED_PAD src0_sel:BYTE_0
	v_cvt_f16_i16_sdwa v27, sext(v27) dst_sel:DWORD dst_unused:UNUSED_PAD src0_sel:BYTE_1
	v_pack_b32_f16 v26, v26, v27
	s_waitcnt vmcnt(0)
	v_pk_mul_f16 v25, v25, v24 op_sel_hi:[1,0]
	v_pk_mul_f16 v24, v24, v26 op_sel_hi:[0,1]
	v_pk_fma_f16 v148, v20, v25, v148 op_sel:[1,0,0]
	v_pk_fma_f16 v20, v20, v24, v149 op_sel:[1,0,0]
	v_add_co_u32_e32 v24, vcc, s19, v104
	v_addc_co_u32_e32 v25, vcc, v150, v77, vcc
	v_mad_u64_u32 v[26:27], s[12:13], v66, 34, v[24:25]
	v_add_co_u32_e32 v28, vcc, v26, v68
	v_addc_co_u32_e32 v29, vcc, 0, v27, vcc
	global_load_dword v28, v[28:29], off offset:2
	v_mad_u64_u32 v[24:25], s[12:13], v58, 34, v[24:25]
	global_load_ushort v26, v[26:27], off
	s_waitcnt vmcnt(1)
	v_lshrrev_b32_e32 v29, 16, v28
	v_cvt_f16_i16_sdwa v27, sext(v28) dst_sel:DWORD dst_unused:UNUSED_PAD src0_sel:BYTE_0
	v_cvt_f16_i16_sdwa v28, sext(v28) dst_sel:DWORD dst_unused:UNUSED_PAD src0_sel:BYTE_1
	v_pack_b32_f16 v27, v27, v28
	v_cvt_f16_i16_sdwa v28, sext(v29) dst_sel:DWORD dst_unused:UNUSED_PAD src0_sel:BYTE_0
	v_cvt_f16_i16_sdwa v29, sext(v29) dst_sel:DWORD dst_unused:UNUSED_PAD src0_sel:BYTE_1
	v_pack_b32_f16 v28, v28, v29
	s_waitcnt vmcnt(0)
	v_pk_mul_f16 v27, v27, v26 op_sel_hi:[1,0]
	v_pk_mul_f16 v26, v26, v28 op_sel_hi:[0,1]
	v_pk_fma_f16 v31, v21, v26, v31 op_sel_hi:[0,1,1]
	v_add_co_u32_e32 v26, vcc, v24, v60
	v_pk_fma_f16 v30, v21, v27, v30 op_sel_hi:[0,1,1]
	v_addc_co_u32_e32 v27, vcc, 0, v25, vcc
	global_load_dword v26, v[26:27], off offset:2
	s_nop 0
	global_load_ushort v24, v[24:25], off
	s_waitcnt vmcnt(1)
	v_lshrrev_b32_e32 v27, 16, v26
	v_cvt_f16_i16_sdwa v25, sext(v26) dst_sel:DWORD dst_unused:UNUSED_PAD src0_sel:BYTE_0
	v_cvt_f16_i16_sdwa v26, sext(v26) dst_sel:DWORD dst_unused:UNUSED_PAD src0_sel:BYTE_1
	v_pack_b32_f16 v25, v25, v26
	v_cvt_f16_i16_sdwa v26, sext(v27) dst_sel:DWORD dst_unused:UNUSED_PAD src0_sel:BYTE_0
	v_cvt_f16_i16_sdwa v27, sext(v27) dst_sel:DWORD dst_unused:UNUSED_PAD src0_sel:BYTE_1
	v_pack_b32_f16 v26, v26, v27
	s_waitcnt vmcnt(0)
	v_pk_mul_f16 v25, v25, v24 op_sel_hi:[1,0]
	v_pk_mul_f16 v24, v24, v26 op_sel_hi:[0,1]
	v_pk_fma_f16 v20, v21, v24, v20 op_sel_hi:[0,1,1]
	v_add_co_u32_e32 v24, vcc, s19, v106
	v_pk_fma_f16 v148, v21, v25, v148 op_sel_hi:[0,1,1]
	v_addc_co_u32_e32 v25, vcc, v150, v79, vcc
	v_mad_u64_u32 v[26:27], s[12:13], v66, 34, v[24:25]
	v_add_co_u32_e32 v28, vcc, v26, v68
	v_addc_co_u32_e32 v29, vcc, 0, v27, vcc
	global_load_dword v28, v[28:29], off offset:2
	v_mad_u64_u32 v[24:25], s[12:13], v58, 34, v[24:25]
	global_load_ushort v26, v[26:27], off
	s_waitcnt vmcnt(1)
	v_lshrrev_b32_e32 v29, 16, v28
	v_cvt_f16_i16_sdwa v27, sext(v28) dst_sel:DWORD dst_unused:UNUSED_PAD src0_sel:BYTE_0
	v_cvt_f16_i16_sdwa v28, sext(v28) dst_sel:DWORD dst_unused:UNUSED_PAD src0_sel:BYTE_1
	v_pack_b32_f16 v27, v27, v28
	v_cvt_f16_i16_sdwa v28, sext(v29) dst_sel:DWORD dst_unused:UNUSED_PAD src0_sel:BYTE_0
	v_cvt_f16_i16_sdwa v29, sext(v29) dst_sel:DWORD dst_unused:UNUSED_PAD src0_sel:BYTE_1
	v_pack_b32_f16 v28, v28, v29
	s_waitcnt vmcnt(0)
	v_pk_mul_f16 v27, v27, v26 op_sel_hi:[1,0]
	v_pk_mul_f16 v26, v26, v28 op_sel_hi:[0,1]
	v_pk_fma_f16 v29, v21, v26, v31 op_sel:[1,0,0]
	v_add_co_u32_e32 v26, vcc, v24, v60
	v_pk_fma_f16 v28, v21, v27, v30 op_sel:[1,0,0]
	v_addc_co_u32_e32 v27, vcc, 0, v25, vcc
	global_load_dword v26, v[26:27], off offset:2
	s_nop 0
	global_load_ushort v24, v[24:25], off
	s_waitcnt vmcnt(1)
	v_lshrrev_b32_e32 v27, 16, v26
	v_cvt_f16_i16_sdwa v25, sext(v26) dst_sel:DWORD dst_unused:UNUSED_PAD src0_sel:BYTE_0
	v_cvt_f16_i16_sdwa v26, sext(v26) dst_sel:DWORD dst_unused:UNUSED_PAD src0_sel:BYTE_1
	v_pack_b32_f16 v25, v25, v26
	v_cvt_f16_i16_sdwa v26, sext(v27) dst_sel:DWORD dst_unused:UNUSED_PAD src0_sel:BYTE_0
	v_cvt_f16_i16_sdwa v27, sext(v27) dst_sel:DWORD dst_unused:UNUSED_PAD src0_sel:BYTE_1
	v_pack_b32_f16 v26, v26, v27
	s_waitcnt vmcnt(0)
	v_pk_mul_f16 v25, v25, v24 op_sel_hi:[1,0]
	v_pk_mul_f16 v24, v24, v26 op_sel_hi:[0,1]
	v_pk_fma_f16 v31, v21, v24, v20 op_sel:[1,0,0]
	v_add_co_u32_e32 v20, vcc, s19, v108
	v_pk_fma_f16 v30, v21, v25, v148 op_sel:[1,0,0]
	v_addc_co_u32_e32 v21, vcc, v150, v81, vcc
	v_mad_u64_u32 v[24:25], s[12:13], v66, 34, v[20:21]
	v_add_co_u32_e32 v26, vcc, v24, v68
	v_addc_co_u32_e32 v27, vcc, 0, v25, vcc
	global_load_dword v26, v[26:27], off offset:2
	v_mad_u64_u32 v[20:21], s[12:13], v58, 34, v[20:21]
	global_load_ushort v24, v[24:25], off
	s_waitcnt vmcnt(1)
	v_lshrrev_b32_e32 v27, 16, v26
	v_cvt_f16_i16_sdwa v25, sext(v26) dst_sel:DWORD dst_unused:UNUSED_PAD src0_sel:BYTE_0
	v_cvt_f16_i16_sdwa v26, sext(v26) dst_sel:DWORD dst_unused:UNUSED_PAD src0_sel:BYTE_1
	v_pack_b32_f16 v25, v25, v26
	v_cvt_f16_i16_sdwa v26, sext(v27) dst_sel:DWORD dst_unused:UNUSED_PAD src0_sel:BYTE_0
	v_cvt_f16_i16_sdwa v27, sext(v27) dst_sel:DWORD dst_unused:UNUSED_PAD src0_sel:BYTE_1
	v_pack_b32_f16 v26, v26, v27
	s_waitcnt vmcnt(0)
	v_pk_mul_f16 v25, v25, v24 op_sel_hi:[1,0]
	v_pk_mul_f16 v24, v24, v26 op_sel_hi:[0,1]
	v_pk_fma_f16 v29, v22, v24, v29 op_sel_hi:[0,1,1]
	v_add_co_u32_e32 v24, vcc, v20, v60
	v_pk_fma_f16 v28, v22, v25, v28 op_sel_hi:[0,1,1]
	v_addc_co_u32_e32 v25, vcc, 0, v21, vcc
	global_load_dword v24, v[24:25], off offset:2
	s_nop 0
	global_load_ushort v20, v[20:21], off
	s_waitcnt vmcnt(1)
	v_lshrrev_b32_e32 v25, 16, v24
	v_cvt_f16_i16_sdwa v21, sext(v24) dst_sel:DWORD dst_unused:UNUSED_PAD src0_sel:BYTE_0
	v_cvt_f16_i16_sdwa v24, sext(v24) dst_sel:DWORD dst_unused:UNUSED_PAD src0_sel:BYTE_1
	v_pack_b32_f16 v21, v21, v24
	v_cvt_f16_i16_sdwa v24, sext(v25) dst_sel:DWORD dst_unused:UNUSED_PAD src0_sel:BYTE_0
	v_cvt_f16_i16_sdwa v25, sext(v25) dst_sel:DWORD dst_unused:UNUSED_PAD src0_sel:BYTE_1
	v_pack_b32_f16 v24, v24, v25
	s_waitcnt vmcnt(0)
	v_pk_mul_f16 v21, v21, v20 op_sel_hi:[1,0]
	v_pk_mul_f16 v20, v20, v24 op_sel_hi:[0,1]
	v_pk_fma_f16 v31, v22, v20, v31 op_sel_hi:[0,1,1]
	v_add_co_u32_e32 v20, vcc, s19, v110
	v_pk_fma_f16 v30, v22, v21, v30 op_sel_hi:[0,1,1]
	v_addc_co_u32_e32 v21, vcc, v150, v83, vcc
	v_mad_u64_u32 v[24:25], s[12:13], v66, 34, v[20:21]
	v_add_co_u32_e32 v26, vcc, v24, v68
	v_addc_co_u32_e32 v27, vcc, 0, v25, vcc
	global_load_dword v26, v[26:27], off offset:2
	v_mad_u64_u32 v[20:21], s[12:13], v58, 34, v[20:21]
	global_load_ushort v24, v[24:25], off
	s_waitcnt vmcnt(1)
	v_lshrrev_b32_e32 v27, 16, v26
	v_cvt_f16_i16_sdwa v25, sext(v26) dst_sel:DWORD dst_unused:UNUSED_PAD src0_sel:BYTE_0
	v_cvt_f16_i16_sdwa v26, sext(v26) dst_sel:DWORD dst_unused:UNUSED_PAD src0_sel:BYTE_1
	v_pack_b32_f16 v25, v25, v26
	v_cvt_f16_i16_sdwa v26, sext(v27) dst_sel:DWORD dst_unused:UNUSED_PAD src0_sel:BYTE_0
	v_cvt_f16_i16_sdwa v27, sext(v27) dst_sel:DWORD dst_unused:UNUSED_PAD src0_sel:BYTE_1
	v_pack_b32_f16 v26, v26, v27
	s_waitcnt vmcnt(0)
	v_pk_mul_f16 v25, v25, v24 op_sel_hi:[1,0]
	v_pk_mul_f16 v24, v24, v26 op_sel_hi:[0,1]
	v_pk_fma_f16 v29, v22, v24, v29 op_sel:[1,0,0]
	v_add_co_u32_e32 v24, vcc, v20, v60
	v_pk_fma_f16 v28, v22, v25, v28 op_sel:[1,0,0]
	v_addc_co_u32_e32 v25, vcc, 0, v21, vcc
	global_load_dword v24, v[24:25], off offset:2
	s_nop 0
	global_load_ushort v20, v[20:21], off
	s_waitcnt vmcnt(1)
	v_lshrrev_b32_e32 v25, 16, v24
	v_cvt_f16_i16_sdwa v21, sext(v24) dst_sel:DWORD dst_unused:UNUSED_PAD src0_sel:BYTE_0
	v_cvt_f16_i16_sdwa v24, sext(v24) dst_sel:DWORD dst_unused:UNUSED_PAD src0_sel:BYTE_1
	v_pack_b32_f16 v21, v21, v24
	v_cvt_f16_i16_sdwa v24, sext(v25) dst_sel:DWORD dst_unused:UNUSED_PAD src0_sel:BYTE_0
	v_cvt_f16_i16_sdwa v25, sext(v25) dst_sel:DWORD dst_unused:UNUSED_PAD src0_sel:BYTE_1
	v_pack_b32_f16 v24, v24, v25
	s_waitcnt vmcnt(0)
	v_pk_mul_f16 v21, v21, v20 op_sel_hi:[1,0]
	v_pk_mul_f16 v20, v20, v24 op_sel_hi:[0,1]
	v_pk_fma_f16 v30, v22, v21, v30 op_sel:[1,0,0]
	v_pk_fma_f16 v22, v22, v20, v31 op_sel:[1,0,0]
	v_add_co_u32_e32 v20, vcc, s19, v112
	v_addc_co_u32_e32 v21, vcc, v150, v85, vcc
	v_mad_u64_u32 v[24:25], s[12:13], v66, 34, v[20:21]
	v_add_co_u32_e32 v26, vcc, v24, v68
	v_addc_co_u32_e32 v27, vcc, 0, v25, vcc
	global_load_dword v26, v[26:27], off offset:2
	v_mad_u64_u32 v[20:21], s[12:13], v58, 34, v[20:21]
	global_load_ushort v24, v[24:25], off
	s_waitcnt vmcnt(1)
	v_lshrrev_b32_e32 v27, 16, v26
	v_cvt_f16_i16_sdwa v25, sext(v26) dst_sel:DWORD dst_unused:UNUSED_PAD src0_sel:BYTE_0
	v_cvt_f16_i16_sdwa v26, sext(v26) dst_sel:DWORD dst_unused:UNUSED_PAD src0_sel:BYTE_1
	v_pack_b32_f16 v25, v25, v26
	v_cvt_f16_i16_sdwa v26, sext(v27) dst_sel:DWORD dst_unused:UNUSED_PAD src0_sel:BYTE_0
	v_cvt_f16_i16_sdwa v27, sext(v27) dst_sel:DWORD dst_unused:UNUSED_PAD src0_sel:BYTE_1
	v_pack_b32_f16 v26, v26, v27
	s_waitcnt vmcnt(0)
	v_pk_mul_f16 v25, v25, v24 op_sel_hi:[1,0]
	v_pk_mul_f16 v24, v24, v26 op_sel_hi:[0,1]
	v_pk_fma_f16 v29, v23, v24, v29 op_sel_hi:[0,1,1]
	v_add_co_u32_e32 v24, vcc, v20, v60
	v_pk_fma_f16 v28, v23, v25, v28 op_sel_hi:[0,1,1]
	v_addc_co_u32_e32 v25, vcc, 0, v21, vcc
	global_load_dword v24, v[24:25], off offset:2
	s_nop 0
	global_load_ushort v20, v[20:21], off
	s_waitcnt vmcnt(1)
	v_lshrrev_b32_e32 v25, 16, v24
	v_cvt_f16_i16_sdwa v21, sext(v24) dst_sel:DWORD dst_unused:UNUSED_PAD src0_sel:BYTE_0
	v_cvt_f16_i16_sdwa v24, sext(v24) dst_sel:DWORD dst_unused:UNUSED_PAD src0_sel:BYTE_1
	v_pack_b32_f16 v21, v21, v24
	v_cvt_f16_i16_sdwa v24, sext(v25) dst_sel:DWORD dst_unused:UNUSED_PAD src0_sel:BYTE_0
	v_cvt_f16_i16_sdwa v25, sext(v25) dst_sel:DWORD dst_unused:UNUSED_PAD src0_sel:BYTE_1
	v_pack_b32_f16 v24, v24, v25
	s_waitcnt vmcnt(0)
	v_pk_mul_f16 v21, v21, v20 op_sel_hi:[1,0]
	v_pk_mul_f16 v20, v20, v24 op_sel_hi:[0,1]
	v_pk_fma_f16 v22, v23, v20, v22 op_sel_hi:[0,1,1]
	v_add_co_u32_e32 v20, vcc, s19, v114
	v_pk_fma_f16 v30, v23, v21, v30 op_sel_hi:[0,1,1]
	v_addc_co_u32_e32 v21, vcc, v150, v87, vcc
	v_mad_u64_u32 v[24:25], s[12:13], v66, 34, v[20:21]
	v_add_co_u32_e32 v26, vcc, v24, v68
	v_addc_co_u32_e32 v27, vcc, 0, v25, vcc
	global_load_dword v26, v[26:27], off offset:2
	v_mad_u64_u32 v[20:21], s[12:13], v58, 34, v[20:21]
	global_load_ushort v24, v[24:25], off
	s_waitcnt vmcnt(1)
	v_lshrrev_b32_e32 v27, 16, v26
	v_cvt_f16_i16_sdwa v25, sext(v26) dst_sel:DWORD dst_unused:UNUSED_PAD src0_sel:BYTE_0
	v_cvt_f16_i16_sdwa v26, sext(v26) dst_sel:DWORD dst_unused:UNUSED_PAD src0_sel:BYTE_1
	v_pack_b32_f16 v25, v25, v26
	v_cvt_f16_i16_sdwa v26, sext(v27) dst_sel:DWORD dst_unused:UNUSED_PAD src0_sel:BYTE_0
	v_cvt_f16_i16_sdwa v27, sext(v27) dst_sel:DWORD dst_unused:UNUSED_PAD src0_sel:BYTE_1
	v_pack_b32_f16 v26, v26, v27
	s_waitcnt vmcnt(0)
	v_pk_mul_f16 v25, v25, v24 op_sel_hi:[1,0]
	v_pk_mul_f16 v24, v24, v26 op_sel_hi:[0,1]
	v_pk_fma_f16 v27, v23, v24, v29 op_sel:[1,0,0]
	v_add_co_u32_e32 v24, vcc, v20, v60
	v_pk_fma_f16 v26, v23, v25, v28 op_sel:[1,0,0]
	v_addc_co_u32_e32 v25, vcc, 0, v21, vcc
	global_load_dword v24, v[24:25], off offset:2
	s_nop 0
	global_load_ushort v20, v[20:21], off
	s_waitcnt vmcnt(1)
	v_lshrrev_b32_e32 v25, 16, v24
	v_cvt_f16_i16_sdwa v21, sext(v24) dst_sel:DWORD dst_unused:UNUSED_PAD src0_sel:BYTE_0
	v_cvt_f16_i16_sdwa v24, sext(v24) dst_sel:DWORD dst_unused:UNUSED_PAD src0_sel:BYTE_1
	v_pack_b32_f16 v21, v21, v24
	v_cvt_f16_i16_sdwa v24, sext(v25) dst_sel:DWORD dst_unused:UNUSED_PAD src0_sel:BYTE_0
	v_cvt_f16_i16_sdwa v25, sext(v25) dst_sel:DWORD dst_unused:UNUSED_PAD src0_sel:BYTE_1
	v_pack_b32_f16 v24, v24, v25
	s_waitcnt vmcnt(0)
	v_pk_mul_f16 v21, v21, v20 op_sel_hi:[1,0]
	v_pk_mul_f16 v20, v20, v24 op_sel_hi:[0,1]
	v_pk_fma_f16 v29, v23, v20, v22 op_sel:[1,0,0]
	v_add_co_u32_e32 v20, vcc, s19, v116
	v_pk_fma_f16 v28, v23, v21, v30 op_sel:[1,0,0]
	v_addc_co_u32_e32 v21, vcc, v150, v89, vcc
	v_mad_u64_u32 v[22:23], s[12:13], v66, 34, v[20:21]
	v_add_co_u32_e32 v24, vcc, v22, v68
	v_addc_co_u32_e32 v25, vcc, 0, v23, vcc
	global_load_dword v24, v[24:25], off offset:2
	v_mad_u64_u32 v[20:21], s[12:13], v58, 34, v[20:21]
	global_load_ushort v22, v[22:23], off
	s_waitcnt vmcnt(1)
	v_lshrrev_b32_e32 v25, 16, v24
	v_cvt_f16_i16_sdwa v23, sext(v24) dst_sel:DWORD dst_unused:UNUSED_PAD src0_sel:BYTE_0
	v_cvt_f16_i16_sdwa v24, sext(v24) dst_sel:DWORD dst_unused:UNUSED_PAD src0_sel:BYTE_1
	v_pack_b32_f16 v23, v23, v24
	v_cvt_f16_i16_sdwa v24, sext(v25) dst_sel:DWORD dst_unused:UNUSED_PAD src0_sel:BYTE_0
	v_cvt_f16_i16_sdwa v25, sext(v25) dst_sel:DWORD dst_unused:UNUSED_PAD src0_sel:BYTE_1
	v_pack_b32_f16 v24, v24, v25
	s_waitcnt vmcnt(0)
	v_pk_mul_f16 v23, v23, v22 op_sel_hi:[1,0]
	v_pk_mul_f16 v22, v22, v24 op_sel_hi:[0,1]
	s_waitcnt lgkmcnt(0)
	v_pk_fma_f16 v27, v16, v22, v27 op_sel_hi:[0,1,1]
	v_add_co_u32_e32 v22, vcc, v20, v60
	v_pk_fma_f16 v26, v16, v23, v26 op_sel_hi:[0,1,1]
	v_addc_co_u32_e32 v23, vcc, 0, v21, vcc
	global_load_dword v22, v[22:23], off offset:2
	s_nop 0
	global_load_ushort v20, v[20:21], off
	s_waitcnt vmcnt(1)
	v_lshrrev_b32_e32 v23, 16, v22
	v_cvt_f16_i16_sdwa v21, sext(v22) dst_sel:DWORD dst_unused:UNUSED_PAD src0_sel:BYTE_0
	v_cvt_f16_i16_sdwa v22, sext(v22) dst_sel:DWORD dst_unused:UNUSED_PAD src0_sel:BYTE_1
	v_pack_b32_f16 v21, v21, v22
	v_cvt_f16_i16_sdwa v22, sext(v23) dst_sel:DWORD dst_unused:UNUSED_PAD src0_sel:BYTE_0
	v_cvt_f16_i16_sdwa v23, sext(v23) dst_sel:DWORD dst_unused:UNUSED_PAD src0_sel:BYTE_1
	v_pack_b32_f16 v22, v22, v23
	s_waitcnt vmcnt(0)
	v_pk_mul_f16 v21, v21, v20 op_sel_hi:[1,0]
	v_pk_mul_f16 v20, v20, v22 op_sel_hi:[0,1]
	v_pk_fma_f16 v29, v16, v20, v29 op_sel_hi:[0,1,1]
	v_add_co_u32_e32 v20, vcc, s19, v118
	v_pk_fma_f16 v28, v16, v21, v28 op_sel_hi:[0,1,1]
	v_addc_co_u32_e32 v21, vcc, v150, v91, vcc
	v_mad_u64_u32 v[22:23], s[12:13], v66, 34, v[20:21]
	v_add_co_u32_e32 v24, vcc, v22, v68
	v_addc_co_u32_e32 v25, vcc, 0, v23, vcc
	global_load_dword v24, v[24:25], off offset:2
	v_mad_u64_u32 v[20:21], s[12:13], v58, 34, v[20:21]
	global_load_ushort v22, v[22:23], off
	s_waitcnt vmcnt(1)
	v_lshrrev_b32_e32 v25, 16, v24
	v_cvt_f16_i16_sdwa v23, sext(v24) dst_sel:DWORD dst_unused:UNUSED_PAD src0_sel:BYTE_0
	v_cvt_f16_i16_sdwa v24, sext(v24) dst_sel:DWORD dst_unused:UNUSED_PAD src0_sel:BYTE_1
	v_pack_b32_f16 v23, v23, v24
	v_cvt_f16_i16_sdwa v24, sext(v25) dst_sel:DWORD dst_unused:UNUSED_PAD src0_sel:BYTE_0
	v_cvt_f16_i16_sdwa v25, sext(v25) dst_sel:DWORD dst_unused:UNUSED_PAD src0_sel:BYTE_1
	v_pack_b32_f16 v24, v24, v25
	s_waitcnt vmcnt(0)
	v_pk_mul_f16 v23, v23, v22 op_sel_hi:[1,0]
	v_pk_mul_f16 v22, v22, v24 op_sel_hi:[0,1]
	v_pk_fma_f16 v27, v16, v22, v27 op_sel:[1,0,0]
	v_add_co_u32_e32 v22, vcc, v20, v60
	v_pk_fma_f16 v26, v16, v23, v26 op_sel:[1,0,0]
	v_addc_co_u32_e32 v23, vcc, 0, v21, vcc
	global_load_dword v22, v[22:23], off offset:2
	s_nop 0
	global_load_ushort v20, v[20:21], off
	s_waitcnt vmcnt(1)
	v_lshrrev_b32_e32 v23, 16, v22
	v_cvt_f16_i16_sdwa v21, sext(v22) dst_sel:DWORD dst_unused:UNUSED_PAD src0_sel:BYTE_0
	v_cvt_f16_i16_sdwa v22, sext(v22) dst_sel:DWORD dst_unused:UNUSED_PAD src0_sel:BYTE_1
	v_pack_b32_f16 v21, v21, v22
	v_cvt_f16_i16_sdwa v22, sext(v23) dst_sel:DWORD dst_unused:UNUSED_PAD src0_sel:BYTE_0
	v_cvt_f16_i16_sdwa v23, sext(v23) dst_sel:DWORD dst_unused:UNUSED_PAD src0_sel:BYTE_1
	v_pack_b32_f16 v22, v22, v23
	s_waitcnt vmcnt(0)
	v_pk_mul_f16 v21, v21, v20 op_sel_hi:[1,0]
	v_pk_mul_f16 v20, v20, v22 op_sel_hi:[0,1]
	v_pk_fma_f16 v28, v16, v21, v28 op_sel:[1,0,0]
	v_pk_fma_f16 v16, v16, v20, v29 op_sel:[1,0,0]
	v_add_co_u32_e32 v20, vcc, s19, v120
	v_addc_co_u32_e32 v21, vcc, v150, v93, vcc
	v_mad_u64_u32 v[22:23], s[12:13], v66, 34, v[20:21]
	v_add_co_u32_e32 v24, vcc, v22, v68
	v_addc_co_u32_e32 v25, vcc, 0, v23, vcc
	global_load_dword v24, v[24:25], off offset:2
	v_mad_u64_u32 v[20:21], s[12:13], v58, 34, v[20:21]
	global_load_ushort v22, v[22:23], off
	s_waitcnt vmcnt(1)
	v_lshrrev_b32_e32 v25, 16, v24
	v_cvt_f16_i16_sdwa v23, sext(v24) dst_sel:DWORD dst_unused:UNUSED_PAD src0_sel:BYTE_0
	v_cvt_f16_i16_sdwa v24, sext(v24) dst_sel:DWORD dst_unused:UNUSED_PAD src0_sel:BYTE_1
	v_pack_b32_f16 v23, v23, v24
	v_cvt_f16_i16_sdwa v24, sext(v25) dst_sel:DWORD dst_unused:UNUSED_PAD src0_sel:BYTE_0
	v_cvt_f16_i16_sdwa v25, sext(v25) dst_sel:DWORD dst_unused:UNUSED_PAD src0_sel:BYTE_1
	v_pack_b32_f16 v24, v24, v25
	s_waitcnt vmcnt(0)
	v_pk_mul_f16 v23, v23, v22 op_sel_hi:[1,0]
	v_pk_mul_f16 v22, v22, v24 op_sel_hi:[0,1]
	v_pk_fma_f16 v27, v17, v22, v27 op_sel_hi:[0,1,1]
	v_add_co_u32_e32 v22, vcc, v20, v60
	v_pk_fma_f16 v26, v17, v23, v26 op_sel_hi:[0,1,1]
	v_addc_co_u32_e32 v23, vcc, 0, v21, vcc
	global_load_dword v22, v[22:23], off offset:2
	s_nop 0
	global_load_ushort v20, v[20:21], off
	s_waitcnt vmcnt(1)
	v_lshrrev_b32_e32 v23, 16, v22
	v_cvt_f16_i16_sdwa v21, sext(v22) dst_sel:DWORD dst_unused:UNUSED_PAD src0_sel:BYTE_0
	v_cvt_f16_i16_sdwa v22, sext(v22) dst_sel:DWORD dst_unused:UNUSED_PAD src0_sel:BYTE_1
	v_pack_b32_f16 v21, v21, v22
	v_cvt_f16_i16_sdwa v22, sext(v23) dst_sel:DWORD dst_unused:UNUSED_PAD src0_sel:BYTE_0
	v_cvt_f16_i16_sdwa v23, sext(v23) dst_sel:DWORD dst_unused:UNUSED_PAD src0_sel:BYTE_1
	v_pack_b32_f16 v22, v22, v23
	s_waitcnt vmcnt(0)
	v_pk_mul_f16 v21, v21, v20 op_sel_hi:[1,0]
	v_pk_mul_f16 v20, v20, v22 op_sel_hi:[0,1]
	v_pk_fma_f16 v16, v17, v20, v16 op_sel_hi:[0,1,1]
	v_add_co_u32_e32 v20, vcc, s19, v122
	v_pk_fma_f16 v28, v17, v21, v28 op_sel_hi:[0,1,1]
	v_addc_co_u32_e32 v21, vcc, v150, v95, vcc
	v_mad_u64_u32 v[22:23], s[12:13], v66, 34, v[20:21]
	v_add_co_u32_e32 v24, vcc, v22, v68
	v_addc_co_u32_e32 v25, vcc, 0, v23, vcc
	global_load_dword v24, v[24:25], off offset:2
	v_mad_u64_u32 v[20:21], s[12:13], v58, 34, v[20:21]
	global_load_ushort v22, v[22:23], off
	s_waitcnt vmcnt(1)
	v_lshrrev_b32_e32 v25, 16, v24
	v_cvt_f16_i16_sdwa v23, sext(v24) dst_sel:DWORD dst_unused:UNUSED_PAD src0_sel:BYTE_0
	v_cvt_f16_i16_sdwa v24, sext(v24) dst_sel:DWORD dst_unused:UNUSED_PAD src0_sel:BYTE_1
	v_pack_b32_f16 v23, v23, v24
	v_cvt_f16_i16_sdwa v24, sext(v25) dst_sel:DWORD dst_unused:UNUSED_PAD src0_sel:BYTE_0
	v_cvt_f16_i16_sdwa v25, sext(v25) dst_sel:DWORD dst_unused:UNUSED_PAD src0_sel:BYTE_1
	v_pack_b32_f16 v24, v24, v25
	s_waitcnt vmcnt(0)
	v_pk_mul_f16 v23, v23, v22 op_sel_hi:[1,0]
	v_pk_mul_f16 v22, v22, v24 op_sel_hi:[0,1]
	v_pk_fma_f16 v25, v17, v22, v27 op_sel:[1,0,0]
	v_add_co_u32_e32 v22, vcc, v20, v60
	v_pk_fma_f16 v24, v17, v23, v26 op_sel:[1,0,0]
	v_addc_co_u32_e32 v23, vcc, 0, v21, vcc
	global_load_dword v22, v[22:23], off offset:2
	s_nop 0
	global_load_ushort v20, v[20:21], off
	s_waitcnt vmcnt(1)
	v_lshrrev_b32_e32 v23, 16, v22
	v_cvt_f16_i16_sdwa v21, sext(v22) dst_sel:DWORD dst_unused:UNUSED_PAD src0_sel:BYTE_0
	v_cvt_f16_i16_sdwa v22, sext(v22) dst_sel:DWORD dst_unused:UNUSED_PAD src0_sel:BYTE_1
	v_pack_b32_f16 v21, v21, v22
	v_cvt_f16_i16_sdwa v22, sext(v23) dst_sel:DWORD dst_unused:UNUSED_PAD src0_sel:BYTE_0
	v_cvt_f16_i16_sdwa v23, sext(v23) dst_sel:DWORD dst_unused:UNUSED_PAD src0_sel:BYTE_1
	v_pack_b32_f16 v22, v22, v23
	s_waitcnt vmcnt(0)
	v_pk_mul_f16 v21, v21, v20 op_sel_hi:[1,0]
	v_pk_mul_f16 v20, v20, v22 op_sel_hi:[0,1]
	v_pk_fma_f16 v27, v17, v20, v16 op_sel:[1,0,0]
	v_add_co_u32_e32 v16, vcc, s19, v124
	v_pk_fma_f16 v26, v17, v21, v28 op_sel:[1,0,0]
	v_addc_co_u32_e32 v17, vcc, v150, v97, vcc
	v_mad_u64_u32 v[20:21], s[12:13], v66, 34, v[16:17]
	v_add_co_u32_e32 v22, vcc, v20, v68
	v_addc_co_u32_e32 v23, vcc, 0, v21, vcc
	global_load_dword v22, v[22:23], off offset:2
	v_mad_u64_u32 v[16:17], s[12:13], v58, 34, v[16:17]
	global_load_ushort v20, v[20:21], off
	s_waitcnt vmcnt(1)
	v_lshrrev_b32_e32 v23, 16, v22
	v_cvt_f16_i16_sdwa v21, sext(v22) dst_sel:DWORD dst_unused:UNUSED_PAD src0_sel:BYTE_0
	v_cvt_f16_i16_sdwa v22, sext(v22) dst_sel:DWORD dst_unused:UNUSED_PAD src0_sel:BYTE_1
	v_pack_b32_f16 v21, v21, v22
	v_cvt_f16_i16_sdwa v22, sext(v23) dst_sel:DWORD dst_unused:UNUSED_PAD src0_sel:BYTE_0
	v_cvt_f16_i16_sdwa v23, sext(v23) dst_sel:DWORD dst_unused:UNUSED_PAD src0_sel:BYTE_1
	v_pack_b32_f16 v22, v22, v23
	s_waitcnt vmcnt(0)
	v_pk_mul_f16 v21, v21, v20 op_sel_hi:[1,0]
	v_pk_mul_f16 v20, v20, v22 op_sel_hi:[0,1]
	v_pk_fma_f16 v25, v18, v20, v25 op_sel_hi:[0,1,1]
	v_add_co_u32_e32 v20, vcc, v16, v60
	v_pk_fma_f16 v24, v18, v21, v24 op_sel_hi:[0,1,1]
	v_addc_co_u32_e32 v21, vcc, 0, v17, vcc
	global_load_dword v20, v[20:21], off offset:2
	s_nop 0
	global_load_ushort v16, v[16:17], off
	s_waitcnt vmcnt(1)
	v_lshrrev_b32_e32 v21, 16, v20
	v_cvt_f16_i16_sdwa v17, sext(v20) dst_sel:DWORD dst_unused:UNUSED_PAD src0_sel:BYTE_0
	v_cvt_f16_i16_sdwa v20, sext(v20) dst_sel:DWORD dst_unused:UNUSED_PAD src0_sel:BYTE_1
	v_pack_b32_f16 v17, v17, v20
	v_cvt_f16_i16_sdwa v20, sext(v21) dst_sel:DWORD dst_unused:UNUSED_PAD src0_sel:BYTE_0
	v_cvt_f16_i16_sdwa v21, sext(v21) dst_sel:DWORD dst_unused:UNUSED_PAD src0_sel:BYTE_1
	v_pack_b32_f16 v20, v20, v21
	s_waitcnt vmcnt(0)
	v_pk_mul_f16 v17, v17, v16 op_sel_hi:[1,0]
	v_pk_mul_f16 v16, v16, v20 op_sel_hi:[0,1]
	v_pk_fma_f16 v27, v18, v16, v27 op_sel_hi:[0,1,1]
	v_add_co_u32_e32 v16, vcc, s19, v126
	v_pk_fma_f16 v26, v18, v17, v26 op_sel_hi:[0,1,1]
	v_addc_co_u32_e32 v17, vcc, v150, v99, vcc
	v_mad_u64_u32 v[20:21], s[12:13], v66, 34, v[16:17]
	v_add_co_u32_e32 v22, vcc, v20, v68
	v_addc_co_u32_e32 v23, vcc, 0, v21, vcc
	global_load_dword v22, v[22:23], off offset:2
	v_mad_u64_u32 v[16:17], s[12:13], v58, 34, v[16:17]
	global_load_ushort v20, v[20:21], off
	s_waitcnt vmcnt(1)
	v_lshrrev_b32_e32 v23, 16, v22
	v_cvt_f16_i16_sdwa v21, sext(v22) dst_sel:DWORD dst_unused:UNUSED_PAD src0_sel:BYTE_0
	v_cvt_f16_i16_sdwa v22, sext(v22) dst_sel:DWORD dst_unused:UNUSED_PAD src0_sel:BYTE_1
	v_pack_b32_f16 v21, v21, v22
	v_cvt_f16_i16_sdwa v22, sext(v23) dst_sel:DWORD dst_unused:UNUSED_PAD src0_sel:BYTE_0
	v_cvt_f16_i16_sdwa v23, sext(v23) dst_sel:DWORD dst_unused:UNUSED_PAD src0_sel:BYTE_1
	v_pack_b32_f16 v22, v22, v23
	s_waitcnt vmcnt(0)
	v_pk_mul_f16 v21, v21, v20 op_sel_hi:[1,0]
	v_pk_mul_f16 v20, v20, v22 op_sel_hi:[0,1]
	v_pk_fma_f16 v25, v18, v20, v25 op_sel:[1,0,0]
	v_add_co_u32_e32 v20, vcc, v16, v60
	v_pk_fma_f16 v24, v18, v21, v24 op_sel:[1,0,0]
	v_addc_co_u32_e32 v21, vcc, 0, v17, vcc
	global_load_dword v20, v[20:21], off offset:2
	s_nop 0
	global_load_ushort v16, v[16:17], off
	s_waitcnt vmcnt(1)
	v_lshrrev_b32_e32 v21, 16, v20
	v_cvt_f16_i16_sdwa v17, sext(v20) dst_sel:DWORD dst_unused:UNUSED_PAD src0_sel:BYTE_0
	v_cvt_f16_i16_sdwa v20, sext(v20) dst_sel:DWORD dst_unused:UNUSED_PAD src0_sel:BYTE_1
	v_pack_b32_f16 v17, v17, v20
	v_cvt_f16_i16_sdwa v20, sext(v21) dst_sel:DWORD dst_unused:UNUSED_PAD src0_sel:BYTE_0
	v_cvt_f16_i16_sdwa v21, sext(v21) dst_sel:DWORD dst_unused:UNUSED_PAD src0_sel:BYTE_1
	v_pack_b32_f16 v20, v20, v21
	s_waitcnt vmcnt(0)
	v_pk_mul_f16 v17, v17, v16 op_sel_hi:[1,0]
	v_pk_mul_f16 v16, v16, v20 op_sel_hi:[0,1]
	v_pk_fma_f16 v26, v18, v17, v26 op_sel:[1,0,0]
	v_pk_fma_f16 v18, v18, v16, v27 op_sel:[1,0,0]
	v_add_co_u32_e32 v16, vcc, s19, v128
	v_addc_co_u32_e32 v17, vcc, v150, v101, vcc
	v_mad_u64_u32 v[20:21], s[12:13], v66, 34, v[16:17]
	v_add_co_u32_e32 v22, vcc, v20, v68
	v_addc_co_u32_e32 v23, vcc, 0, v21, vcc
	global_load_dword v22, v[22:23], off offset:2
	v_mad_u64_u32 v[16:17], s[12:13], v58, 34, v[16:17]
	global_load_ushort v20, v[20:21], off
	s_waitcnt vmcnt(1)
	v_lshrrev_b32_e32 v23, 16, v22
	v_cvt_f16_i16_sdwa v21, sext(v22) dst_sel:DWORD dst_unused:UNUSED_PAD src0_sel:BYTE_0
	v_cvt_f16_i16_sdwa v22, sext(v22) dst_sel:DWORD dst_unused:UNUSED_PAD src0_sel:BYTE_1
	v_pack_b32_f16 v21, v21, v22
	v_cvt_f16_i16_sdwa v22, sext(v23) dst_sel:DWORD dst_unused:UNUSED_PAD src0_sel:BYTE_0
	v_cvt_f16_i16_sdwa v23, sext(v23) dst_sel:DWORD dst_unused:UNUSED_PAD src0_sel:BYTE_1
	v_pack_b32_f16 v22, v22, v23
	s_waitcnt vmcnt(0)
	v_pk_mul_f16 v21, v21, v20 op_sel_hi:[1,0]
	v_pk_mul_f16 v20, v20, v22 op_sel_hi:[0,1]
	v_pk_fma_f16 v25, v19, v20, v25 op_sel_hi:[0,1,1]
	v_add_co_u32_e32 v20, vcc, v16, v60
	v_pk_fma_f16 v24, v19, v21, v24 op_sel_hi:[0,1,1]
	v_addc_co_u32_e32 v21, vcc, 0, v17, vcc
	global_load_dword v20, v[20:21], off offset:2
	s_nop 0
	global_load_ushort v16, v[16:17], off
	s_waitcnt vmcnt(1)
	v_lshrrev_b32_e32 v21, 16, v20
	v_cvt_f16_i16_sdwa v17, sext(v20) dst_sel:DWORD dst_unused:UNUSED_PAD src0_sel:BYTE_0
	v_cvt_f16_i16_sdwa v20, sext(v20) dst_sel:DWORD dst_unused:UNUSED_PAD src0_sel:BYTE_1
	v_pack_b32_f16 v17, v17, v20
	v_cvt_f16_i16_sdwa v20, sext(v21) dst_sel:DWORD dst_unused:UNUSED_PAD src0_sel:BYTE_0
	v_cvt_f16_i16_sdwa v21, sext(v21) dst_sel:DWORD dst_unused:UNUSED_PAD src0_sel:BYTE_1
	v_pack_b32_f16 v20, v20, v21
	s_waitcnt vmcnt(0)
	v_pk_mul_f16 v17, v17, v16 op_sel_hi:[1,0]
	v_pk_mul_f16 v16, v16, v20 op_sel_hi:[0,1]
	v_pk_fma_f16 v18, v19, v16, v18 op_sel_hi:[0,1,1]
	v_add_co_u32_e32 v16, vcc, s19, v130
	v_pk_fma_f16 v26, v19, v17, v26 op_sel_hi:[0,1,1]
	v_addc_co_u32_e32 v17, vcc, v150, v103, vcc
	v_mad_u64_u32 v[20:21], s[12:13], v66, 34, v[16:17]
	v_add_co_u32_e32 v22, vcc, v20, v68
	v_addc_co_u32_e32 v23, vcc, 0, v21, vcc
	global_load_dword v22, v[22:23], off offset:2
	v_mad_u64_u32 v[16:17], s[12:13], v58, 34, v[16:17]
	global_load_ushort v20, v[20:21], off
	s_add_u32 s19, s19, s45
	s_addc_u32 s35, s35, 0
	s_lshl_b64 s[12:13], s[38:39], 1
	s_add_u32 s24, s24, s12
	s_addc_u32 s25, s25, s13
	s_cmp_ge_i32 s18, s34
	s_waitcnt vmcnt(1)
	v_lshrrev_b32_e32 v23, 16, v22
	v_cvt_f16_i16_sdwa v21, sext(v22) dst_sel:DWORD dst_unused:UNUSED_PAD src0_sel:BYTE_0
	v_cvt_f16_i16_sdwa v22, sext(v22) dst_sel:DWORD dst_unused:UNUSED_PAD src0_sel:BYTE_1
	v_pack_b32_f16 v21, v21, v22
	v_cvt_f16_i16_sdwa v22, sext(v23) dst_sel:DWORD dst_unused:UNUSED_PAD src0_sel:BYTE_0
	v_cvt_f16_i16_sdwa v23, sext(v23) dst_sel:DWORD dst_unused:UNUSED_PAD src0_sel:BYTE_1
	v_pack_b32_f16 v22, v22, v23
	s_waitcnt vmcnt(0)
	v_pk_mul_f16 v21, v21, v20 op_sel_hi:[1,0]
	v_pk_mul_f16 v20, v20, v22 op_sel_hi:[0,1]
	v_pk_fma_f16 v149, v19, v20, v25 op_sel:[1,0,0]
	v_add_co_u32_e32 v20, vcc, v16, v60
	v_pk_fma_f16 v148, v19, v21, v24 op_sel:[1,0,0]
	v_addc_co_u32_e32 v21, vcc, 0, v17, vcc
	global_load_dword v20, v[20:21], off offset:2
	s_nop 0
	global_load_ushort v16, v[16:17], off
	s_waitcnt vmcnt(1)
	v_lshrrev_b32_e32 v21, 16, v20
	v_cvt_f16_i16_sdwa v17, sext(v20) dst_sel:DWORD dst_unused:UNUSED_PAD src0_sel:BYTE_0
	v_cvt_f16_i16_sdwa v20, sext(v20) dst_sel:DWORD dst_unused:UNUSED_PAD src0_sel:BYTE_1
	v_pack_b32_f16 v17, v17, v20
	v_cvt_f16_i16_sdwa v20, sext(v21) dst_sel:DWORD dst_unused:UNUSED_PAD src0_sel:BYTE_0
	v_cvt_f16_i16_sdwa v21, sext(v21) dst_sel:DWORD dst_unused:UNUSED_PAD src0_sel:BYTE_1
	v_pack_b32_f16 v20, v20, v21
	s_waitcnt vmcnt(0)
	v_pk_mul_f16 v17, v17, v16 op_sel_hi:[1,0]
	v_pk_mul_f16 v16, v16, v20 op_sel_hi:[0,1]
	v_pk_fma_f16 v152, v19, v17, v26 op_sel:[1,0,0]
	v_pk_fma_f16 v151, v19, v16, v18 op_sel:[1,0,0]
	s_cbranch_scc1 .LBB27_41
; %bb.40:                               ;   in Loop: Header=BB27_15 Depth=1
	v_mov_b32_e32 v20, v146
	s_branch .LBB27_15
.LBB27_41:
	s_cmp_lg_u64 s[16:17], 0
	v_or_b32_e32 v0, s7, v105
	s_cselect_b64 s[2:3], -1, 0
	v_cmp_eq_u32_e32 vcc, 0, v0
	s_and_b64 s[8:9], vcc, s[2:3]
	s_and_saveexec_b64 s[2:3], s[8:9]
	s_cbranch_execz .LBB27_43
; %bb.42:
	s_lshl_b64 s[8:9], s[30:31], 2
	s_add_u32 s8, s16, s8
	s_addc_u32 s9, s17, s9
	s_load_dword s8, s[8:9], 0x0
	v_max_f32_e32 v0, v146, v146
	s_mov_b32 s9, 0x3fb8aa3b
	s_mov_b32 s10, 0xc2ce8ed0
	;; [unrolled: 1-line block ×3, first 2 shown]
	s_waitcnt lgkmcnt(0)
	v_max_f32_e64 v1, s8, s8
	v_max_f32_e32 v0, v1, v0
	v_sub_f32_e32 v1, v146, v0
	v_mul_f32_e32 v2, 0x3fb8aa3b, v1
	v_fma_f32 v3, v1, s9, -v2
	v_rndne_f32_e32 v4, v2
	v_fmac_f32_e32 v3, 0x32a5705f, v1
	v_sub_f32_e32 v2, v2, v4
	v_add_f32_e32 v2, v2, v3
	v_cvt_i32_f32_e32 v3, v4
	v_exp_f32_e32 v2, v2
	v_cmp_ngt_f32_e32 vcc, s10, v1
	v_mov_b32_e32 v146, v0
	v_ldexp_f32 v2, v2, v3
	v_sub_f32_e32 v3, s8, v0
	v_mul_f32_e32 v4, 0x3fb8aa3b, v3
	v_fma_f32 v5, v3, s9, -v4
	v_rndne_f32_e32 v6, v4
	v_fmac_f32_e32 v5, 0x32a5705f, v3
	v_sub_f32_e32 v4, v4, v6
	v_add_f32_e32 v4, v4, v5
	v_exp_f32_e32 v4, v4
	v_cvt_i32_f32_e32 v5, v6
	v_cndmask_b32_e32 v2, 0, v2, vcc
	v_mov_b32_e32 v6, 0x7f800000
	v_cmp_nlt_f32_e32 vcc, s11, v1
	v_cndmask_b32_e32 v1, v6, v2, vcc
	v_ldexp_f32 v2, v4, v5
	v_cmp_ngt_f32_e32 vcc, s10, v3
	v_cndmask_b32_e32 v2, 0, v2, vcc
	v_cvt_f16_f32_e32 v4, v1
	v_cmp_nlt_f32_e32 vcc, s11, v3
	v_cndmask_b32_e32 v2, v6, v2, vcc
	v_cmp_eq_u32_e32 vcc, 0, v107
	v_cndmask_b32_e32 v2, 0, v2, vcc
	v_fmac_f32_e32 v2, v119, v1
	v_pk_mul_f16 v148, v4, v148 op_sel_hi:[0,1]
	v_pk_mul_f16 v149, v4, v149 op_sel_hi:[0,1]
	;; [unrolled: 1-line block ×4, first 2 shown]
	v_mov_b32_e32 v119, v2
.LBB27_43:
	s_or_b64 exec, exec, s[2:3]
	s_and_saveexec_b64 s[2:3], s[0:1]
	s_cbranch_execz .LBB27_45
; %bb.44:
	v_mov_b32_e32 v0, 0xfeffffff
	v_mov_b32_e32 v1, 0
	v_add_u32_e32 v2, 0x800, v117
	ds_write2_b32 v2, v0, v1 offset1:32
.LBB27_45:
	s_or_b64 exec, exec, s[2:3]
	v_cmp_eq_u32_e32 vcc, 0, v107
	v_lshlrev_b32_e32 v4, 2, v105
	s_waitcnt lgkmcnt(0)
	s_barrier
	s_and_saveexec_b64 s[0:1], vcc
	s_cbranch_execz .LBB27_47
; %bb.46:
	ds_write_b32 v4, v146 offset:2048
.LBB27_47:
	s_or_b64 exec, exec, s[0:1]
	v_mbcnt_hi_u32_b32 v3, -1, v109
	s_waitcnt lgkmcnt(0)
	s_barrier
	ds_read_b32 v0, v117 offset:2048
	v_and_b32_e32 v1, 0x60, v3
	v_add_u32_e32 v7, 32, v1
	v_xor_b32_e32 v1, 16, v3
	v_cmp_lt_i32_e64 s[0:1], v1, v7
	v_cndmask_b32_e64 v1, v3, v1, s[0:1]
	v_lshlrev_b32_e32 v6, 2, v1
	s_waitcnt lgkmcnt(0)
	ds_bpermute_b32 v1, v6, v0
	v_max_f32_e32 v0, v0, v0
	s_waitcnt lgkmcnt(0)
	v_max_f32_e32 v1, v1, v1
	v_max_f32_e32 v0, v0, v1
	v_xor_b32_e32 v1, 8, v3
	v_cmp_lt_i32_e64 s[0:1], v1, v7
	v_cndmask_b32_e64 v1, v3, v1, s[0:1]
	v_lshlrev_b32_e32 v5, 2, v1
	ds_bpermute_b32 v1, v5, v0
	s_waitcnt lgkmcnt(0)
	v_max_f32_e32 v1, v1, v1
	v_max_f32_e32 v0, v0, v1
	v_xor_b32_e32 v1, 4, v3
	v_cmp_lt_i32_e64 s[0:1], v1, v7
	v_cndmask_b32_e64 v1, v3, v1, s[0:1]
	v_lshlrev_b32_e32 v1, 2, v1
	ds_bpermute_b32 v2, v1, v0
	;; [unrolled: 8-line block ×4, first 2 shown]
	s_mov_b32 s0, 0x3fb8aa3b
	s_waitcnt lgkmcnt(0)
	v_max_f32_e32 v7, v7, v7
	v_max_f32_e32 v0, v0, v7
	v_sub_f32_e32 v7, v146, v0
	v_mul_f32_e32 v8, 0x3fb8aa3b, v7
	v_fma_f32 v9, v7, s0, -v8
	v_rndne_f32_e32 v10, v8
	v_fmac_f32_e32 v9, 0x32a5705f, v7
	v_sub_f32_e32 v8, v8, v10
	v_add_f32_e32 v8, v8, v9
	v_exp_f32_e32 v8, v8
	v_cvt_i32_f32_e32 v9, v10
	s_mov_b32 s0, 0xc2ce8ed0
	v_cmp_ngt_f32_e64 s[0:1], s0, v7
	v_ldexp_f32 v8, v8, v9
	v_cndmask_b32_e64 v8, 0, v8, s[0:1]
	s_mov_b32 s0, 0x42b17218
	v_mov_b32_e32 v9, 0x7f800000
	v_cmp_nlt_f32_e64 s[0:1], s0, v7
	v_cndmask_b32_e64 v7, v9, v8, s[0:1]
	v_mul_f32_e32 v8, v119, v7
	ds_bpermute_b32 v8, v6, v8
	v_cvt_f16_f32_e32 v13, v7
	s_waitcnt lgkmcnt(0)
	v_fmac_f32_e32 v8, v119, v7
	ds_bpermute_b32 v9, v5, v8
	v_pk_mul_f16 v10, v13, v148 op_sel_hi:[0,1]
	v_pk_mul_f16 v11, v13, v149 op_sel_hi:[0,1]
	;; [unrolled: 1-line block ×4, first 2 shown]
	s_waitcnt lgkmcnt(0)
	v_add_f32_e32 v8, v8, v9
	ds_bpermute_b32 v9, v1, v8
	s_waitcnt lgkmcnt(0)
	v_add_f32_e32 v7, v8, v9
	ds_bpermute_b32 v8, v2, v7
	v_lshlrev_b32_e32 v9, 3, v107
	v_lshl_add_u32 v9, v105, 9, v9
	ds_write2_b64 v9, v[10:11], v[12:13] offset1:32
	s_waitcnt lgkmcnt(1)
	v_add_f32_e32 v7, v7, v8
	ds_bpermute_b32 v8, v3, v7
	s_and_saveexec_b64 s[0:1], vcc
	s_cbranch_execz .LBB27_49
; %bb.48:
	s_waitcnt lgkmcnt(0)
	v_add_f32_e32 v7, v7, v8
	ds_write_b32 v4, v7 offset:2176
.LBB27_49:
	s_or_b64 exec, exec, s[0:1]
	s_waitcnt lgkmcnt(0)
	s_barrier
	ds_read_b32 v4, v117 offset:2176
	s_load_dword s3, s[4:5], 0xd4
	s_mul_i32 s2, s33, s28
	s_waitcnt lgkmcnt(0)
	ds_bpermute_b32 v6, v6, v4
	s_cmp_eq_u32 s3, 1
	s_waitcnt lgkmcnt(0)
	v_add_f32_e32 v4, v4, v6
	ds_bpermute_b32 v5, v5, v4
	ds_read_u16 v6, v115
	ds_read_u16 v7, v115 offset:1792
	ds_read_u16 v8, v115 offset:1536
	;; [unrolled: 1-line block ×3, first 2 shown]
	s_waitcnt lgkmcnt(2)
	v_cvt_f32_f16_e32 v7, v7
	v_add_f32_e32 v4, v4, v5
	ds_bpermute_b32 v1, v1, v4
	ds_read_u16 v5, v115 offset:1024
	ds_read_u16 v10, v115 offset:768
	;; [unrolled: 1-line block ×4, first 2 shown]
	s_waitcnt lgkmcnt(6)
	v_cvt_f32_f16_e32 v8, v8
	s_waitcnt lgkmcnt(3)
	v_cvt_f32_f16_e32 v5, v5
	;; [unrolled: 2-line block ×3, first 2 shown]
	v_add_f32_e32 v1, v4, v1
	ds_bpermute_b32 v2, v2, v1
	v_cvt_f32_f16_e32 v4, v6
	s_waitcnt lgkmcnt(2)
	v_cvt_f32_f16_e32 v6, v11
	v_cvt_f32_f16_e32 v9, v9
	s_waitcnt lgkmcnt(0)
	v_add_f32_e32 v1, v1, v2
	ds_bpermute_b32 v2, v3, v1
	v_add_f32_e32 v3, 0, v4
	v_add_f32_e32 v3, v3, v6
	;; [unrolled: 1-line block ×4, first 2 shown]
	s_waitcnt lgkmcnt(0)
	v_add_f32_e32 v1, v1, v2
	v_div_scale_f32 v2, s[0:1], v1, v1, v3
	v_rcp_f32_e32 v4, v2
	v_div_scale_f32 v5, vcc, v3, v1, v3
	s_cselect_b64 s[0:1], -1, 0
	v_fma_f32 v6, -v2, v4, 1.0
	v_fmac_f32_e32 v4, v6, v4
	v_mul_f32_e32 v6, v5, v4
	v_fma_f32 v8, -v2, v6, v5
	v_fmac_f32_e32 v6, v8, v4
	v_cvt_f32_f16_e32 v8, v12
	s_add_i32 s2, s2, s6
	s_mul_i32 s2, s2, s29
	v_fma_f32 v2, -v2, v6, v5
	v_add_f32_e32 v8, 0, v8
	v_add_f32_e32 v8, v8, v10
	v_add_f32_e32 v8, v8, v9
	s_add_i32 s2, s2, s30
	v_add_f32_e32 v7, v8, v7
	v_div_fmas_f32 v2, v2, v4, v6
	s_mul_i32 s2, s3, s2
	v_div_scale_f32 v8, s[4:5], v1, v1, v7
	v_div_fixup_f32 v2, v2, v1, v3
	s_add_i32 s2, s2, s7
	v_rcp_f32_e32 v9, v8
	v_cndmask_b32_e64 v6, v3, v2, s[0:1]
	v_lshl_or_b32 v2, s2, 8, v113
	v_mov_b32_e32 v3, 0
	v_lshlrev_b64 v[4:5], 2, v[2:3]
	v_mov_b32_e32 v2, s21
	v_add_co_u32_e32 v4, vcc, s20, v4
	v_addc_co_u32_e32 v5, vcc, v2, v5, vcc
	v_fma_f32 v2, -v8, v9, 1.0
	v_fmac_f32_e32 v9, v2, v9
	v_div_scale_f32 v2, vcc, v7, v1, v7
	global_store_dword v[4:5], v6, off
	v_mul_f32_e32 v6, v2, v9
	v_fma_f32 v10, -v8, v6, v2
	v_fmac_f32_e32 v6, v10, v9
	v_fma_f32 v2, -v8, v6, v2
	v_div_fmas_f32 v2, v2, v9, v6
	v_div_fixup_f32 v2, v2, v1, v7
	s_cmp_lg_u32 s3, 1
	v_cndmask_b32_e64 v2, v7, v2, s[0:1]
	s_cselect_b64 s[0:1], -1, 0
	v_cmp_eq_u32_e32 vcc, 0, v113
	s_and_b64 s[0:1], vcc, s[0:1]
	global_store_dword v[4:5], v2, off offset:512
	s_and_saveexec_b64 s[4:5], s[0:1]
	s_cbranch_execz .LBB27_51
; %bb.50:
	s_mov_b32 s3, 0
	s_lshl_b64 s[0:1], s[2:3], 3
	s_add_u32 s0, s22, s0
	s_addc_u32 s1, s23, s1
	global_store_dwordx2 v3, v[0:1], s[0:1]
.LBB27_51:
	s_endpgm
	.section	.rodata,"a",@progbits
	.p2align	6, 0x0
	.amdhsa_kernel _ZL18flash_attn_ext_vecILi256ELi1EL9ggml_type6ELS0_8ELb1EEvPKcS2_S2_S2_S2_PKiPfP15HIP_vector_typeIfLj2EEffffjfiS6_IjLj3EEiiiiiiiiiiiliiliiiiil
		.amdhsa_group_segment_fixed_size 2304
		.amdhsa_private_segment_fixed_size 0
		.amdhsa_kernarg_size 464
		.amdhsa_user_sgpr_count 6
		.amdhsa_user_sgpr_private_segment_buffer 1
		.amdhsa_user_sgpr_dispatch_ptr 0
		.amdhsa_user_sgpr_queue_ptr 0
		.amdhsa_user_sgpr_kernarg_segment_ptr 1
		.amdhsa_user_sgpr_dispatch_id 0
		.amdhsa_user_sgpr_flat_scratch_init 0
		.amdhsa_user_sgpr_kernarg_preload_length 0
		.amdhsa_user_sgpr_kernarg_preload_offset 0
		.amdhsa_user_sgpr_private_segment_size 0
		.amdhsa_uses_dynamic_stack 0
		.amdhsa_system_sgpr_private_segment_wavefront_offset 0
		.amdhsa_system_sgpr_workgroup_id_x 1
		.amdhsa_system_sgpr_workgroup_id_y 1
		.amdhsa_system_sgpr_workgroup_id_z 1
		.amdhsa_system_sgpr_workgroup_info 0
		.amdhsa_system_vgpr_workitem_id 1
		.amdhsa_next_free_vgpr 160
		.amdhsa_next_free_sgpr 54
		.amdhsa_accum_offset 160
		.amdhsa_reserve_vcc 1
		.amdhsa_reserve_flat_scratch 0
		.amdhsa_float_round_mode_32 0
		.amdhsa_float_round_mode_16_64 0
		.amdhsa_float_denorm_mode_32 3
		.amdhsa_float_denorm_mode_16_64 3
		.amdhsa_dx10_clamp 1
		.amdhsa_ieee_mode 1
		.amdhsa_fp16_overflow 0
		.amdhsa_tg_split 0
		.amdhsa_exception_fp_ieee_invalid_op 0
		.amdhsa_exception_fp_denorm_src 0
		.amdhsa_exception_fp_ieee_div_zero 0
		.amdhsa_exception_fp_ieee_overflow 0
		.amdhsa_exception_fp_ieee_underflow 0
		.amdhsa_exception_fp_ieee_inexact 0
		.amdhsa_exception_int_div_zero 0
	.end_amdhsa_kernel
	.section	.text._ZL18flash_attn_ext_vecILi256ELi1EL9ggml_type6ELS0_8ELb1EEvPKcS2_S2_S2_S2_PKiPfP15HIP_vector_typeIfLj2EEffffjfiS6_IjLj3EEiiiiiiiiiiiliiliiiiil,"axG",@progbits,_ZL18flash_attn_ext_vecILi256ELi1EL9ggml_type6ELS0_8ELb1EEvPKcS2_S2_S2_S2_PKiPfP15HIP_vector_typeIfLj2EEffffjfiS6_IjLj3EEiiiiiiiiiiiliiliiiiil,comdat
.Lfunc_end27:
	.size	_ZL18flash_attn_ext_vecILi256ELi1EL9ggml_type6ELS0_8ELb1EEvPKcS2_S2_S2_S2_PKiPfP15HIP_vector_typeIfLj2EEffffjfiS6_IjLj3EEiiiiiiiiiiiliiliiiiil, .Lfunc_end27-_ZL18flash_attn_ext_vecILi256ELi1EL9ggml_type6ELS0_8ELb1EEvPKcS2_S2_S2_S2_PKiPfP15HIP_vector_typeIfLj2EEffffjfiS6_IjLj3EEiiiiiiiiiiiliiliiiiil
                                        ; -- End function
	.section	.AMDGPU.csdata,"",@progbits
; Kernel info:
; codeLenInByte = 23776
; NumSgprs: 58
; NumVgprs: 160
; NumAgprs: 0
; TotalNumVgprs: 160
; ScratchSize: 0
; MemoryBound: 0
; FloatMode: 240
; IeeeMode: 1
; LDSByteSize: 2304 bytes/workgroup (compile time only)
; SGPRBlocks: 7
; VGPRBlocks: 19
; NumSGPRsForWavesPerEU: 58
; NumVGPRsForWavesPerEU: 160
; AccumOffset: 160
; Occupancy: 3
; WaveLimiterHint : 0
; COMPUTE_PGM_RSRC2:SCRATCH_EN: 0
; COMPUTE_PGM_RSRC2:USER_SGPR: 6
; COMPUTE_PGM_RSRC2:TRAP_HANDLER: 0
; COMPUTE_PGM_RSRC2:TGID_X_EN: 1
; COMPUTE_PGM_RSRC2:TGID_Y_EN: 1
; COMPUTE_PGM_RSRC2:TGID_Z_EN: 1
; COMPUTE_PGM_RSRC2:TIDIG_COMP_CNT: 1
; COMPUTE_PGM_RSRC3_GFX90A:ACCUM_OFFSET: 39
; COMPUTE_PGM_RSRC3_GFX90A:TG_SPLIT: 0
	.section	.text._ZL18flash_attn_ext_vecILi256ELi2EL9ggml_type6ELS0_8ELb0EEvPKcS2_S2_S2_S2_PKiPfP15HIP_vector_typeIfLj2EEffffjfiS6_IjLj3EEiiiiiiiiiiiliiliiiiil,"axG",@progbits,_ZL18flash_attn_ext_vecILi256ELi2EL9ggml_type6ELS0_8ELb0EEvPKcS2_S2_S2_S2_PKiPfP15HIP_vector_typeIfLj2EEffffjfiS6_IjLj3EEiiiiiiiiiiiliiliiiiil,comdat
	.globl	_ZL18flash_attn_ext_vecILi256ELi2EL9ggml_type6ELS0_8ELb0EEvPKcS2_S2_S2_S2_PKiPfP15HIP_vector_typeIfLj2EEffffjfiS6_IjLj3EEiiiiiiiiiiiliiliiiiil ; -- Begin function _ZL18flash_attn_ext_vecILi256ELi2EL9ggml_type6ELS0_8ELb0EEvPKcS2_S2_S2_S2_PKiPfP15HIP_vector_typeIfLj2EEffffjfiS6_IjLj3EEiiiiiiiiiiiliiliiiiil
	.p2align	8
	.type	_ZL18flash_attn_ext_vecILi256ELi2EL9ggml_type6ELS0_8ELb0EEvPKcS2_S2_S2_S2_PKiPfP15HIP_vector_typeIfLj2EEffffjfiS6_IjLj3EEiiiiiiiiiiiliiliiiiil,@function
_ZL18flash_attn_ext_vecILi256ELi2EL9ggml_type6ELS0_8ELb0EEvPKcS2_S2_S2_S2_PKiPfP15HIP_vector_typeIfLj2EEffffjfiS6_IjLj3EEiiiiiiiiiiiliiliiiiil: ; @_ZL18flash_attn_ext_vecILi256ELi2EL9ggml_type6ELS0_8ELb0EEvPKcS2_S2_S2_S2_PKiPfP15HIP_vector_typeIfLj2EEffffjfiS6_IjLj3EEiiiiiiiiiiiliiliiiiil
; %bb.0:
	s_load_dwordx2 s[34:35], s[4:5], 0x64
	s_load_dwordx2 s[46:47], s[4:5], 0x80
	;; [unrolled: 1-line block ×3, first 2 shown]
	s_add_u32 s0, s0, s11
	s_addc_u32 s1, s1, 0
	s_waitcnt lgkmcnt(0)
	v_cvt_f32_u32_e32 v1, s35
	s_sub_i32 s6, 0, s35
	s_load_dwordx4 s[36:39], s[4:5], 0x40
	v_mov_b32_e32 v139, 1.0
	v_rcp_iflag_f32_e32 v1, v1
	v_mul_f32_e32 v1, 0x4f7ffffe, v1
	v_cvt_u32_f32_e32 v1, v1
	v_readfirstlane_b32 s7, v1
	s_mul_i32 s6, s6, s7
	s_mul_hi_u32 s6, s7, s6
	s_add_i32 s7, s7, s6
	s_mul_hi_u32 s6, s10, s7
	s_mul_i32 s7, s6, s35
	s_sub_i32 s7, s10, s7
	s_add_i32 s11, s6, 1
	s_sub_i32 s12, s7, s35
	s_cmp_ge_u32 s7, s35
	s_cselect_b32 s6, s11, s6
	s_cselect_b32 s7, s12, s7
	s_add_i32 s11, s6, 1
	s_cmp_ge_u32 s7, s35
	s_cselect_b32 s48, s11, s6
	s_abs_i32 s6, s47
	v_cvt_f32_u32_e32 v1, s6
	s_mul_i32 s12, s48, s35
	s_sub_i32 s13, 0, s6
	s_sub_i32 s40, s10, s12
	v_rcp_iflag_f32_e32 v1, v1
	s_abs_i32 s11, s35
	s_xor_b32 s7, s35, s47
	s_ashr_i32 s7, s7, 31
	v_mul_f32_e32 v1, 0x4f7ffffe, v1
	v_cvt_u32_f32_e32 v1, v1
	v_readfirstlane_b32 s10, v1
	s_mul_i32 s13, s13, s10
	s_mul_hi_u32 s12, s10, s13
	s_add_i32 s10, s10, s12
	s_mul_hi_u32 s10, s11, s10
	s_mul_i32 s12, s10, s6
	s_sub_i32 s11, s11, s12
	s_add_i32 s13, s10, 1
	s_sub_i32 s12, s11, s6
	s_cmp_ge_u32 s11, s6
	s_cselect_b32 s10, s13, s10
	s_cselect_b32 s11, s12, s11
	s_add_i32 s12, s10, 1
	s_cmp_ge_u32 s11, s6
	s_cselect_b32 s6, s12, s10
	s_xor_b32 s6, s6, s7
	s_sub_i32 s45, s6, s7
	s_load_dword s6, s[4:5], 0x50
	s_abs_i32 s14, s14
	s_abs_i32 s44, s45
	v_cvt_f32_u32_e32 v1, s14
	v_cvt_f32_u32_e32 v2, s44
	s_waitcnt lgkmcnt(0)
	v_cmp_le_f32_e64 s[10:11], s37, 0
	s_mov_b32 s42, s36
	v_rcp_iflag_f32_e32 v1, v1
	v_rcp_iflag_f32_e32 v2, v2
	s_mov_b32 s43, s37
	s_and_b64 vcc, exec, s[10:11]
	v_mul_f32_e32 v1, 0x4f7ffffe, v1
	v_mul_f32_e32 v2, 0x4f7ffffe, v2
	v_cvt_u32_f32_e32 v1, v1
	v_cvt_u32_f32_e32 v2, v2
	v_readfirstlane_b32 s47, v1
	v_readfirstlane_b32 s49, v2
	s_cbranch_vccnz .LBB28_2
; %bb.1:
	s_sub_i32 s7, s40, s6
	s_lshl_b32 s7, s7, 1
	s_add_i32 s10, s40, 1
	s_or_b32 s11, s7, 1
	s_cmp_lt_u32 s40, s6
	s_cselect_b64 vcc, -1, 0
	s_and_b64 s[6:7], vcc, exec
	v_mov_b32_e32 v1, s39
	v_mov_b32_e32 v2, s38
	s_cselect_b32 s6, s10, s11
	v_cndmask_b32_e32 v18, v1, v2, vcc
	v_cvt_f32_i32_e32 v1, s6
	v_cmp_neq_f32_e32 vcc, 1.0, v18
	s_mov_b32 s6, 0x3f2aaaab
	s_movk_i32 s10, 0x204
	v_cndmask_b32_e32 v19, 1.0, v1, vcc
	v_cmp_eq_f32_e32 vcc, 0, v19
	v_cndmask_b32_e64 v20, |v18|, 1.0, vcc
	v_frexp_mant_f32_e32 v1, v20
	v_cmp_gt_f32_e64 s[6:7], s6, v1
	v_cndmask_b32_e64 v2, 1.0, 2.0, s[6:7]
	v_mul_f32_e32 v1, v1, v2
	v_add_f32_e32 v2, 1.0, v1
	v_rcp_f32_e32 v10, v2
	v_add_f32_e32 v3, -1.0, v2
	v_sub_f32_e32 v5, v1, v3
	v_add_f32_e32 v3, -1.0, v1
	v_mul_f32_e32 v1, v3, v10
	v_mul_f32_e32 v4, v2, v1
	v_fma_f32 v6, v1, v2, -v4
	v_fmac_f32_e32 v6, v1, v5
	v_add_f32_e32 v2, v4, v6
	v_sub_f32_e32 v5, v3, v2
	v_pk_add_f32 v[8:9], v[2:3], v[4:5] neg_lo:[0,1] neg_hi:[0,1]
	v_mov_b32_e32 v7, v2
	v_pk_add_f32 v[2:3], v[8:9], v[6:7] neg_lo:[0,1] neg_hi:[0,1]
	v_add_f32_e32 v2, v2, v3
	v_add_f32_e32 v2, v5, v2
	v_mul_f32_e32 v3, v10, v2
	v_add_f32_e32 v2, v1, v3
	v_sub_f32_e32 v1, v2, v1
	v_sub_f32_e32 v1, v3, v1
	v_mul_f32_e32 v3, v2, v2
	v_fma_f32 v5, v2, v2, -v3
	v_add_f32_e32 v4, v1, v1
	v_fmac_f32_e32 v5, v2, v4
	v_add_f32_e32 v4, v3, v5
	v_mov_b32_e32 v6, 0x3e91f4c4
	v_fmac_f32_e32 v6, 0x3e76c4e1, v4
	v_mov_b32_e32 v7, 0x3ecccdef
	v_fmac_f32_e32 v7, v4, v6
	v_sub_f32_e32 v3, v4, v3
	v_sub_f32_e32 v12, v5, v3
	v_mul_f32_e32 v3, v4, v7
	v_fma_f32 v5, v4, v7, -v3
	v_fmac_f32_e32 v5, v12, v7
	v_add_f32_e32 v6, v3, v5
	v_add_f32_e32 v7, 0x3f2aaaaa, v6
	v_sub_f32_e32 v3, v6, v3
	v_sub_f32_e32 v3, v5, v3
	v_add_f32_e32 v5, 0xbf2aaaaa, v7
	v_add_f32_e32 v3, 0x31739010, v3
	v_sub_f32_e32 v5, v6, v5
	v_pk_mul_f32 v[8:9], v[2:3], v[4:5]
	v_fma_f32 v6, v4, v2, -v8
	v_pk_add_f32 v[10:11], v[2:3], v[4:5]
	v_fmac_f32_e32 v6, v4, v1
	v_mov_b32_e32 v9, v11
	v_fmac_f32_e32 v6, v12, v2
	v_pk_add_f32 v[4:5], v[8:9], v[6:7]
	v_sub_f32_e32 v3, v4, v8
	v_sub_f32_e32 v3, v6, v3
	;; [unrolled: 1-line block ×3, first 2 shown]
	v_add_f32_e32 v9, v11, v6
	v_mov_b32_e32 v6, v5
	v_pk_mul_f32 v[6:7], v[4:5], v[6:7]
	v_cvt_f64_f32_e32 v[10:11], v20
	v_frexp_exp_i32_f64_e32 v7, v[10:11]
	v_subbrev_co_u32_e64 v7, s[6:7], 0, v7, s[6:7]
	v_cvt_f32_i32_e32 v7, v7
	v_fma_f32 v8, v4, v5, -v6
	v_fmac_f32_e32 v8, v4, v9
	s_mov_b32 s6, 0x3f317218
	v_mul_f32_e32 v4, 0x3f317218, v7
	v_fmac_f32_e32 v8, v3, v5
	v_fma_f32 v10, v7, s6, -v4
	v_fmac_f32_e32 v10, 0xb102e308, v7
	v_ldexp_f32 v11, v2, 1
	v_add_f32_e32 v5, v6, v8
	v_pk_add_f32 v[2:3], v[4:5], v[10:11]
	v_mov_b32_e32 v12, v5
	v_mov_b32_e32 v13, v3
	;; [unrolled: 1-line block ×3, first 2 shown]
	v_pk_add_f32 v[6:7], v[12:13], v[6:7] neg_lo:[0,1] neg_hi:[0,1]
	v_mov_b32_e32 v9, v5
	v_ldexp_f32 v1, v1, 1
	v_pk_add_f32 v[6:7], v[8:9], v[6:7] neg_lo:[0,1] neg_hi:[0,1]
	v_add_f32_e32 v1, v1, v6
	v_add_f32_e32 v5, v1, v7
	v_pk_add_f32 v[6:7], v[2:3], v[4:5] neg_lo:[0,1] neg_hi:[0,1]
	v_pk_add_f32 v[8:9], v[2:3], v[4:5]
	v_mov_b32_e32 v12, v6
	v_mov_b32_e32 v13, v9
	;; [unrolled: 1-line block ×3, first 2 shown]
	v_pk_add_f32 v[12:13], v[10:11], v[12:13]
	v_mov_b32_e32 v4, v13
	v_pk_add_f32 v[14:15], v[4:5], v[2:3] neg_lo:[0,1] neg_hi:[0,1]
	v_mov_b32_e32 v1, v14
	v_mov_b32_e32 v12, v9
	;; [unrolled: 1-line block ×4, first 2 shown]
	v_pk_add_f32 v[6:7], v[10:11], v[6:7] neg_lo:[0,1] neg_hi:[0,1]
	v_pk_add_f32 v[16:17], v[8:9], v[0:1] neg_lo:[0,1] neg_hi:[0,1]
	;; [unrolled: 1-line block ×3, first 2 shown]
	v_mov_b32_e32 v10, v5
	v_pk_add_f32 v[2:3], v[10:11], v[2:3] neg_lo:[0,1] neg_hi:[0,1]
	v_mov_b32_e32 v16, v6
	v_pk_add_f32 v[8:9], v[16:17], v[2:3]
	v_mov_b32_e32 v10, v9
	v_pk_add_f32 v[10:11], v[8:9], v[10:11]
	v_pk_add_f32 v[4:5], v[4:5], v[10:11]
	v_mov_b32_e32 v7, v13
	v_mov_b32_e32 v9, v4
	v_pk_add_f32 v[12:13], v[8:9], v[6:7] neg_lo:[0,1] neg_hi:[0,1]
	v_mov_b32_e32 v3, v10
	v_sub_f32_e32 v1, v8, v12
	v_pk_add_f32 v[2:3], v[2:3], v[12:13] neg_lo:[0,1] neg_hi:[0,1]
	v_sub_f32_e32 v1, v6, v1
	v_add_f32_e32 v1, v2, v1
	v_add_f32_e32 v1, v1, v3
	;; [unrolled: 1-line block ×3, first 2 shown]
	v_sub_f32_e32 v3, v2, v4
	v_sub_f32_e32 v1, v1, v3
	v_mul_f32_e32 v3, v19, v2
	v_fma_f32 v2, v19, v2, -v3
	v_fmac_f32_e32 v2, v19, v1
	v_add_f32_e32 v1, v3, v2
	v_cmp_class_f32_e64 s[6:7], v3, s10
	v_sub_f32_e32 v4, v1, v3
	v_cndmask_b32_e64 v1, v1, v3, s[6:7]
	s_mov_b32 s12, 0x42b17218
	v_mov_b32_e32 v3, 0x37000000
	v_cmp_eq_f32_e64 s[6:7], s12, v1
	v_cndmask_b32_e64 v3, 0, v3, s[6:7]
	v_sub_f32_e32 v2, v2, v4
	v_sub_f32_e32 v4, v1, v3
	s_mov_b32 s6, 0x3fb8aa3b
	v_mul_f32_e32 v5, 0x3fb8aa3b, v4
	v_fma_f32 v6, v4, s6, -v5
	v_rndne_f32_e32 v7, v5
	v_fmac_f32_e32 v6, 0x32a5705f, v4
	v_sub_f32_e32 v5, v5, v7
	v_add_f32_e32 v5, v5, v6
	v_exp_f32_e32 v5, v5
	v_cvt_i32_f32_e32 v6, v7
	s_mov_b32 s11, 0x7f800000
	v_cmp_neq_f32_e64 s[6:7], |v1|, s11
	v_cndmask_b32_e64 v1, 0, v2, s[6:7]
	s_mov_b32 s6, 0xc2ce8ed0
	v_ldexp_f32 v2, v5, v6
	v_cmp_ngt_f32_e64 s[6:7], s6, v4
	v_add_f32_e32 v1, v3, v1
	v_cndmask_b32_e64 v2, 0, v2, s[6:7]
	v_mov_b32_e32 v3, 0x7f800000
	v_cmp_nlt_f32_e64 s[6:7], s12, v4
	v_cndmask_b32_e64 v2, v3, v2, s[6:7]
	v_fma_f32 v1, v2, v1, v2
	v_cmp_class_f32_e64 s[6:7], v2, s10
	v_trunc_f32_e32 v4, v19
	v_cndmask_b32_e64 v1, v1, v2, s[6:7]
	v_cndmask_b32_e64 v2, v18, 1.0, vcc
	v_cmp_eq_f32_e32 vcc, v4, v19
	v_mul_f32_e32 v4, 0.5, v19
	v_trunc_f32_e32 v6, v4
	v_cmp_neq_f32_e64 s[6:7], v6, v4
	s_and_b64 s[6:7], vcc, s[6:7]
	v_cndmask_b32_e64 v4, 1.0, v2, s[6:7]
	s_brev_b32 s16, -2
	v_mov_b32_e32 v5, 0x7fc00000
	v_bfi_b32 v1, s16, v1, v4
	v_cndmask_b32_e32 v4, v5, v1, vcc
	v_cmp_gt_f32_e32 vcc, 0, v2
	v_cndmask_b32_e32 v1, v1, v4, vcc
	v_cmp_eq_f32_e32 vcc, s11, v20
	v_cmp_eq_f32_e64 s[10:11], 0, v2
	v_cmp_gt_f32_e64 s[12:13], 0, v19
	s_xor_b64 s[12:13], s[12:13], s[10:11]
	v_cndmask_b32_e64 v3, v3, 0, s[12:13]
	v_cndmask_b32_e64 v4, 0, v2, s[6:7]
	v_bfi_b32 v3, s16, v3, v4
	s_or_b64 vcc, vcc, s[10:11]
	v_cndmask_b32_e32 v1, v1, v3, vcc
	v_cmp_o_f32_e32 vcc, v2, v2
	v_cndmask_b32_e32 v139, v5, v1, vcc
.LBB28_2:
	s_load_dwordx16 s[16:31], s[4:5], 0x0
	v_bfe_u32 v129, v0, 10, 10
	s_lshl_b32 s33, s8, 1
	v_and_b32_e32 v127, 0x3ff, v0
	v_mov_b32_e32 v28, 0
	v_cmp_lt_u32_e64 s[6:7], 1, v129
	v_cmp_gt_u32_e32 vcc, 2, v129
	v_lshlrev_b32_e32 v131, 9, v129
	buffer_store_dword v28, off, s[0:3], 0
	buffer_store_dword v28, off, s[0:3], 0 offset:8
	buffer_store_dword v28, off, s[0:3], 0 offset:4
	;; [unrolled: 1-line block ×7, first 2 shown]
	s_and_saveexec_b64 s[12:13], vcc
	s_cbranch_execz .LBB28_17
; %bb.3:
	v_or_b32_e32 v0, s33, v129
	v_cmp_le_i32_e32 vcc, s34, v0
	v_lshl_add_u32 v6, v127, 2, v131
	s_and_saveexec_b64 s[10:11], vcc
	s_xor_b64 s[10:11], exec, s[10:11]
	s_cbranch_execz .LBB28_7
; %bb.4:
	v_mov_b32_e32 v0, 0
	v_cmp_gt_u32_e32 vcc, 8, v127
	ds_write2_b32 v6, v0, v0 offset1:32
	s_and_saveexec_b64 s[38:39], vcc
	s_cbranch_execz .LBB28_6
; %bb.5:
	v_lshl_add_u32 v2, v127, 2, v6
	v_mov_b32_e32 v1, v0
	ds_write_b64 v2, v[0:1] offset:256
.LBB28_6:
	s_or_b64 exec, exec, s[38:39]
                                        ; implicit-def: $vgpr6
.LBB28_7:
	s_andn2_saveexec_b64 s[10:11], s[10:11]
	s_cbranch_execz .LBB28_17
; %bb.8:
	s_load_dwordx4 s[52:55], s[4:5], 0x70
	v_mbcnt_lo_u32_b32 v7, -1, 0
	v_mbcnt_hi_u32_b32 v9, -1, v7
	v_and_b32_e32 v7, 0x60, v9
	v_xor_b32_e32 v8, 4, v9
	s_waitcnt lgkmcnt(0)
	s_mul_i32 s10, s48, s54
	s_mul_i32 s37, s33, s52
	;; [unrolled: 1-line block ×3, first 2 shown]
	s_add_i32 s10, s10, s37
	s_add_i32 s10, s10, s11
	s_ashr_i32 s11, s10, 31
	s_add_u32 s10, s16, s10
	v_mul_lo_u32 v0, v129, s52
	s_addc_u32 s11, s17, s11
	v_ashrrev_i32_e32 v1, 31, v0
	v_mov_b32_e32 v2, s11
	v_add_co_u32_e32 v0, vcc, s10, v0
	v_addc_co_u32_e32 v1, vcc, v2, v1, vcc
	v_lshlrev_b32_e32 v2, 4, v127
	v_add_co_u32_e32 v0, vcc, v0, v2
	v_addc_co_u32_e32 v1, vcc, 0, v1, vcc
	global_load_dwordx4 v[2:5], v[0:1], off
	v_add_u32_e32 v13, 32, v7
	v_xor_b32_e32 v10, 2, v9
	v_cmp_lt_i32_e32 vcc, v8, v13
	v_cndmask_b32_e32 v7, v9, v8, vcc
	v_cmp_lt_i32_e32 vcc, v10, v13
	v_cndmask_b32_e32 v10, v9, v10, vcc
	v_lshlrev_b32_e32 v8, 2, v7
	v_lshlrev_b32_e32 v7, 2, v10
	v_xor_b32_e32 v11, 1, v9
	v_cmp_lt_i32_e32 vcc, v11, v13
	v_cndmask_b32_e32 v9, v9, v11, vcc
	v_lshlrev_b32_e32 v9, 2, v9
	s_mov_b32 s16, 0x42fe0000
	s_mov_b32 s37, s36
	s_waitcnt vmcnt(0)
	v_mul_f32_e32 v12, s36, v2
	v_mov_b32_e32 v2, v5
	v_pk_mul_f32 v[2:3], v[2:3], s[42:43] op_sel_hi:[1,0]
	v_max_f32_e64 v5, |v12|, |v12|
	v_mul_f32_e32 v10, s36, v4
	v_max_f32_e64 v5, v5, |v3|
	v_max3_f32 v5, v5, |v10|, |v2|
	ds_bpermute_b32 v14, v8, v5
	v_add_f32_e32 v15, v3, v12
	v_fmac_f32_e32 v15, s36, v4
	v_add_f32_e32 v4, v2, v15
	ds_bpermute_b32 v15, v8, v4
	s_waitcnt lgkmcnt(1)
	v_max_f32_e32 v14, v14, v14
	v_max_f32_e32 v5, v5, v14
	ds_bpermute_b32 v14, v7, v5
	s_waitcnt lgkmcnt(1)
	v_add_f32_e32 v4, v4, v15
	ds_bpermute_b32 v11, v7, v4
	s_waitcnt lgkmcnt(1)
	v_max_f32_e32 v13, v14, v14
	v_max_f32_e32 v14, v5, v13
	ds_bpermute_b32 v15, v9, v14
	s_waitcnt lgkmcnt(1)
	v_add_f32_e32 v5, v4, v11
	ds_bpermute_b32 v11, v9, v5
	v_mov_b32_e32 v13, 0
	s_waitcnt lgkmcnt(1)
	v_max_f32_e32 v4, v15, v15
	v_max_f32_e32 v4, v14, v4
	v_div_scale_f32 v14, s[10:11], s16, s16, v4
	v_rcp_f32_e32 v15, v14
	v_div_scale_f32 v16, vcc, v4, s16, v4
	v_fma_f32 v17, -v14, v15, 1.0
	v_fmac_f32_e32 v15, v17, v15
	v_mul_f32_e32 v17, v16, v15
	v_fma_f32 v18, -v14, v17, v16
	v_fmac_f32_e32 v17, v18, v15
	v_fma_f32 v14, -v14, v17, v16
	v_div_fmas_f32 v14, v14, v15, v17
	v_div_fixup_f32 v4, v14, s16, v4
	v_cmp_neq_f32_e32 vcc, 0, v4
	s_and_saveexec_b64 s[10:11], vcc
	s_cbranch_execz .LBB28_10
; %bb.9:
	v_div_scale_f32 v13, s[16:17], v4, v4, v12
	v_rcp_f32_e32 v14, v13
	v_div_scale_f32 v15, vcc, v12, v4, v12
	s_brev_b32 s38, -2
	v_fma_f32 v16, -v13, v14, 1.0
	v_fmac_f32_e32 v14, v16, v14
	v_mul_f32_e32 v16, v15, v14
	v_fma_f32 v17, -v13, v16, v15
	v_fmac_f32_e32 v16, v17, v14
	v_fma_f32 v13, -v13, v16, v15
	v_div_fmas_f32 v13, v13, v14, v16
	v_div_fixup_f32 v12, v13, v4, v12
	v_trunc_f32_e32 v13, v12
	v_sub_f32_e32 v14, v12, v13
	v_cmp_ge_f32_e64 s[16:17], |v14|, 0.5
	v_cndmask_b32_e64 v14, 0, 1.0, s[16:17]
	v_div_scale_f32 v15, s[16:17], v4, v4, v2
	v_rcp_f32_e32 v16, v15
	v_bfi_b32 v12, s38, v14, v12
	v_add_f32_e32 v12, v13, v12
	v_cvt_i32_f32_e32 v12, v12
	v_fma_f32 v13, -v15, v16, 1.0
	v_fmac_f32_e32 v16, v13, v16
	v_div_scale_f32 v13, vcc, v2, v4, v2
	v_mul_f32_e32 v14, v13, v16
	v_fma_f32 v17, -v15, v14, v13
	v_fmac_f32_e32 v14, v17, v16
	v_div_scale_f32 v17, s[16:17], v4, v4, v3
	v_rcp_f32_e32 v18, v17
	v_fma_f32 v13, -v15, v14, v13
	v_div_fmas_f32 v13, v13, v16, v14
	v_div_fixup_f32 v2, v13, v4, v2
	v_fma_f32 v14, -v17, v18, 1.0
	v_fmac_f32_e32 v18, v14, v18
	v_div_scale_f32 v14, vcc, v3, v4, v3
	v_mul_f32_e32 v15, v14, v18
	v_fma_f32 v16, -v17, v15, v14
	v_fmac_f32_e32 v15, v16, v18
	v_div_scale_f32 v16, s[16:17], v4, v4, v10
	v_rcp_f32_e32 v19, v16
	v_fma_f32 v14, -v17, v15, v14
	v_div_fmas_f32 v14, v14, v18, v15
	v_div_fixup_f32 v3, v14, v4, v3
	v_fma_f32 v15, -v16, v19, 1.0
	v_fmac_f32_e32 v19, v15, v19
	v_div_scale_f32 v15, vcc, v10, v4, v10
	v_mul_f32_e32 v17, v15, v19
	v_fma_f32 v18, -v16, v17, v15
	v_fmac_f32_e32 v17, v18, v19
	v_fma_f32 v15, -v16, v17, v15
	v_div_fmas_f32 v15, v15, v19, v17
	v_div_fixup_f32 v10, v15, v4, v10
	v_trunc_f32_e32 v15, v10
	v_sub_f32_e32 v16, v10, v15
	v_trunc_f32_e32 v13, v3
	v_cmp_ge_f32_e64 s[16:17], |v16|, 0.5
	v_sub_f32_e32 v14, v3, v13
	v_cndmask_b32_e64 v16, 0, 1.0, s[16:17]
	v_cmp_ge_f32_e64 s[16:17], |v14|, 0.5
	v_cndmask_b32_e64 v14, 0, 1.0, s[16:17]
	v_bfi_b32 v3, s38, v14, v3
	v_add_f32_e32 v3, v13, v3
	v_trunc_f32_e32 v13, v2
	v_sub_f32_e32 v14, v2, v13
	v_bfi_b32 v10, s38, v16, v10
	v_cmp_ge_f32_e64 s[16:17], |v14|, 0.5
	v_add_f32_e32 v10, v15, v10
	v_cndmask_b32_e64 v14, 0, 1.0, s[16:17]
	v_cvt_i32_f32_e32 v10, v10
	v_bfi_b32 v2, s38, v14, v2
	v_add_f32_e32 v2, v13, v2
	v_cvt_i32_f32_e32 v3, v3
	v_cvt_i32_f32_e32 v2, v2
	v_and_b32_e32 v10, 0xff, v10
	v_lshlrev_b32_e32 v10, 16, v10
	v_mov_b32_e32 v13, 8
	v_lshlrev_b32_sdwa v3, v13, v3 dst_sel:DWORD dst_unused:UNUSED_PAD src0_sel:DWORD src1_sel:BYTE_0
	v_lshl_or_b32 v2, v2, 24, v10
	v_and_b32_e32 v10, 0xff, v12
	v_or3_b32 v13, v2, v3, v10
.LBB28_10:
	s_or_b64 exec, exec, s[10:11]
	v_and_b32_e32 v2, 7, v127
	v_cmp_eq_u32_e64 s[10:11], 0, v2
	v_add_u32_e32 v10, v131, v127
	ds_write_b32 v6, v13
	s_and_saveexec_b64 s[16:17], s[10:11]
	s_cbranch_execz .LBB28_12
; %bb.11:
	s_waitcnt lgkmcnt(1)
	v_add_f32_e32 v5, v5, v11
	ds_write_b64 v10, v[4:5] offset:256
.LBB28_12:
	s_or_b64 exec, exec, s[16:17]
	global_load_dwordx4 v[0:3], v[0:1], off offset:512
	s_waitcnt vmcnt(0) lgkmcnt(1)
	v_mul_f32_e32 v11, s36, v0
	v_mov_b32_e32 v0, v3
	v_pk_mul_f32 v[0:1], v[0:1], s[36:37]
	v_max_f32_e64 v3, |v11|, |v11|
	v_mul_f32_e32 v5, s36, v2
	v_max_f32_e64 v3, v3, |v1|
	v_max3_f32 v3, v3, |v5|, |v0|
	ds_bpermute_b32 v4, v8, v3
	v_add_f32_e32 v12, v1, v11
	v_fmac_f32_e32 v12, s36, v2
	v_add_f32_e32 v2, v0, v12
	ds_bpermute_b32 v8, v8, v2
	s_waitcnt lgkmcnt(1)
	v_max_f32_e32 v4, v4, v4
	v_max_f32_e32 v3, v3, v4
	ds_bpermute_b32 v4, v7, v3
	s_mov_b32 s36, 0x42fe0000
	s_waitcnt lgkmcnt(1)
	v_add_f32_e32 v2, v2, v8
	ds_bpermute_b32 v7, v7, v2
	s_waitcnt lgkmcnt(1)
	v_max_f32_e32 v4, v4, v4
	v_max_f32_e32 v4, v3, v4
	ds_bpermute_b32 v8, v9, v4
	s_waitcnt lgkmcnt(1)
	v_add_f32_e32 v3, v2, v7
	s_waitcnt lgkmcnt(0)
	v_max_f32_e32 v2, v8, v8
	v_max_f32_e32 v2, v4, v2
	v_div_scale_f32 v7, s[16:17], s36, s36, v2
	v_rcp_f32_e32 v8, v7
	ds_bpermute_b32 v4, v9, v3
	v_div_scale_f32 v9, vcc, v2, s36, v2
	v_fma_f32 v12, -v7, v8, 1.0
	v_fmac_f32_e32 v8, v12, v8
	v_mul_f32_e32 v12, v9, v8
	v_fma_f32 v13, -v7, v12, v9
	v_fmac_f32_e32 v12, v13, v8
	v_fma_f32 v7, -v7, v12, v9
	v_div_fmas_f32 v7, v7, v8, v12
	v_div_fixup_f32 v2, v7, s36, v2
	v_cmp_neq_f32_e32 vcc, 0, v2
	v_mov_b32_e32 v7, 0
	s_and_saveexec_b64 s[16:17], vcc
	s_cbranch_execz .LBB28_14
; %bb.13:
	v_div_scale_f32 v7, s[36:37], v2, v2, v11
	v_rcp_f32_e32 v8, v7
	v_div_scale_f32 v9, vcc, v11, v2, v11
	s_brev_b32 s38, -2
	v_fma_f32 v12, -v7, v8, 1.0
	v_fmac_f32_e32 v8, v12, v8
	v_mul_f32_e32 v12, v9, v8
	v_fma_f32 v13, -v7, v12, v9
	v_fmac_f32_e32 v12, v13, v8
	v_fma_f32 v7, -v7, v12, v9
	v_div_fmas_f32 v7, v7, v8, v12
	v_div_fixup_f32 v7, v7, v2, v11
	v_trunc_f32_e32 v8, v7
	v_sub_f32_e32 v9, v7, v8
	v_cmp_ge_f32_e64 s[36:37], |v9|, 0.5
	v_cndmask_b32_e64 v9, 0, 1.0, s[36:37]
	v_div_scale_f32 v11, s[36:37], v2, v2, v0
	v_rcp_f32_e32 v12, v11
	v_bfi_b32 v7, s38, v9, v7
	v_add_f32_e32 v7, v8, v7
	v_cvt_i32_f32_e32 v7, v7
	v_fma_f32 v8, -v11, v12, 1.0
	v_fmac_f32_e32 v12, v8, v12
	v_div_scale_f32 v8, vcc, v0, v2, v0
	v_mul_f32_e32 v9, v8, v12
	v_fma_f32 v13, -v11, v9, v8
	v_fmac_f32_e32 v9, v13, v12
	v_div_scale_f32 v13, s[36:37], v2, v2, v1
	v_rcp_f32_e32 v14, v13
	v_fma_f32 v8, -v11, v9, v8
	v_div_fmas_f32 v8, v8, v12, v9
	v_div_fixup_f32 v0, v8, v2, v0
	v_fma_f32 v9, -v13, v14, 1.0
	v_fmac_f32_e32 v14, v9, v14
	v_div_scale_f32 v9, vcc, v1, v2, v1
	v_mul_f32_e32 v11, v9, v14
	v_fma_f32 v12, -v13, v11, v9
	v_fmac_f32_e32 v11, v12, v14
	v_div_scale_f32 v12, s[36:37], v2, v2, v5
	v_rcp_f32_e32 v15, v12
	v_fma_f32 v9, -v13, v11, v9
	v_div_fmas_f32 v9, v9, v14, v11
	v_div_fixup_f32 v1, v9, v2, v1
	v_fma_f32 v11, -v12, v15, 1.0
	v_fmac_f32_e32 v15, v11, v15
	v_div_scale_f32 v11, vcc, v5, v2, v5
	v_mul_f32_e32 v13, v11, v15
	v_fma_f32 v14, -v12, v13, v11
	v_fmac_f32_e32 v13, v14, v15
	v_fma_f32 v11, -v12, v13, v11
	v_div_fmas_f32 v11, v11, v15, v13
	v_div_fixup_f32 v5, v11, v2, v5
	v_trunc_f32_e32 v11, v5
	v_sub_f32_e32 v12, v5, v11
	v_trunc_f32_e32 v8, v1
	v_cmp_ge_f32_e64 s[36:37], |v12|, 0.5
	v_sub_f32_e32 v9, v1, v8
	v_cndmask_b32_e64 v12, 0, 1.0, s[36:37]
	v_cmp_ge_f32_e64 s[36:37], |v9|, 0.5
	v_cndmask_b32_e64 v9, 0, 1.0, s[36:37]
	v_bfi_b32 v1, s38, v9, v1
	v_add_f32_e32 v1, v8, v1
	v_trunc_f32_e32 v8, v0
	v_sub_f32_e32 v9, v0, v8
	v_bfi_b32 v5, s38, v12, v5
	v_cmp_ge_f32_e64 s[36:37], |v9|, 0.5
	v_add_f32_e32 v5, v11, v5
	v_cndmask_b32_e64 v9, 0, 1.0, s[36:37]
	v_cvt_i32_f32_e32 v5, v5
	v_bfi_b32 v0, s38, v9, v0
	v_add_f32_e32 v0, v8, v0
	v_cvt_i32_f32_e32 v1, v1
	v_cvt_i32_f32_e32 v0, v0
	v_and_b32_e32 v5, 0xff, v5
	v_lshlrev_b32_e32 v5, 16, v5
	v_mov_b32_e32 v8, 8
	v_lshlrev_b32_sdwa v1, v8, v1 dst_sel:DWORD dst_unused:UNUSED_PAD src0_sel:DWORD src1_sel:BYTE_0
	v_lshl_or_b32 v0, v0, 24, v5
	v_and_b32_e32 v5, 0xff, v7
	v_or3_b32 v7, v0, v1, v5
.LBB28_14:
	s_or_b64 exec, exec, s[16:17]
	ds_write_b32 v6, v7 offset:128
	s_and_saveexec_b64 s[16:17], s[10:11]
	s_cbranch_execz .LBB28_16
; %bb.15:
	s_waitcnt lgkmcnt(1)
	v_add_f32_e32 v3, v3, v4
	ds_write_b64 v10, v[2:3] offset:288
.LBB28_16:
	s_or_b64 exec, exec, s[16:17]
.LBB28_17:
	s_or_b64 exec, exec, s[12:13]
	v_and_b32_e32 v32, 3, v127
	v_lshlrev_b32_e32 v50, 2, v32
	s_waitcnt lgkmcnt(0)
	s_barrier
	ds_read2_b32 v[52:53], v50 offset1:4
	ds_read2_b32 v[54:55], v50 offset0:8 offset1:12
	ds_read_b128 v[0:3], v28 offset:256
	ds_read_b128 v[4:7], v28 offset:272
	;; [unrolled: 1-line block ×4, first 2 shown]
	ds_read2_b32 v[56:57], v50 offset0:16 offset1:20
	ds_read2_b32 v[58:59], v50 offset0:24 offset1:28
	;; [unrolled: 1-line block ×9, first 2 shown]
	ds_read_b128 v[16:19], v28 offset:768
	ds_read_b128 v[20:23], v28 offset:784
	ds_read2_b32 v[74:75], v50 offset0:152 offset1:156
	ds_read2_b32 v[76:77], v50 offset0:160 offset1:164
	;; [unrolled: 1-line block ×5, first 2 shown]
	ds_read_b128 v[24:27], v28 offset:800
	ds_read_b128 v[28:31], v28 offset:816
	s_cmp_eq_u64 s[26:27], 0
	s_mov_b32 s41, s46
	s_waitcnt lgkmcnt(0)
	s_barrier
	s_cbranch_scc1 .LBB28_19
; %bb.18:
	s_load_dword s10, s[4:5], 0xd0
	s_mov_b32 s11, 0
	s_waitcnt lgkmcnt(0)
	s_mul_i32 s10, s10, s48
	s_add_i32 s10, s10, s8
	s_lshl_b64 s[10:11], s[10:11], 2
	s_add_u32 s10, s26, s10
	s_addc_u32 s11, s27, s11
	s_load_dword s41, s[10:11], 0x0
.LBB28_19:
	v_lshlrev_b32_e32 v33, 5, v129
	s_mov_b32 s10, 0xfeffffff
	s_mov_b32 s43, 0
	v_add_u32_e32 v133, v33, v127
	s_lshl_b32 s26, s9, 7
	s_mov_b32 s11, s10
	s_mov_b32 s42, s43
	s_waitcnt lgkmcnt(0)
	s_cmp_ge_i32 s26, s41
	v_pk_mov_b32 v[48:49], s[42:43], s[42:43] op_sel:[0,1]
	v_pk_mov_b32 v[172:173], s[10:11], s[10:11] op_sel:[0,1]
	v_mbcnt_lo_u32_b32 v141, -1, 0
	v_lshlrev_b32_e32 v137, 2, v127
	v_lshlrev_b32_e32 v135, 1, v133
	s_cbranch_scc1 .LBB28_38
; %bb.20:
	s_sub_i32 s8, 0, s44
	s_load_dwordx2 s[16:17], s[4:5], 0x8c
	s_load_dwordx4 s[36:39], s[4:5], 0x98
	s_sub_i32 s10, 0, s14
	s_mul_i32 s8, s8, s49
	s_mul_i32 s10, s10, s47
	s_mul_hi_u32 s8, s49, s8
	s_mul_hi_u32 s10, s47, s10
	s_abs_i32 s11, s40
	s_add_i32 s49, s49, s8
	s_add_i32 s47, s47, s10
	s_mul_hi_u32 s10, s11, s49
	s_ashr_i32 s12, s40, 31
	s_ashr_i32 s13, s45, 31
	;; [unrolled: 1-line block ×3, first 2 shown]
	s_waitcnt lgkmcnt(0)
	s_mul_i32 s37, s48, s37
	s_mul_hi_u32 s45, s48, s36
	s_xor_b32 s12, s12, s13
	s_mul_i32 s13, s10, s44
	s_add_i32 s37, s45, s37
	s_mul_i32 s45, s42, s36
	s_sub_i32 s11, s11, s13
	s_abs_i32 s8, s48
	s_add_i32 s37, s37, s45
	s_add_i32 s13, s10, 1
	s_sub_i32 s45, s11, s44
	s_cmp_ge_u32 s11, s44
	s_cselect_b32 s10, s13, s10
	s_cselect_b32 s11, s45, s11
	s_add_i32 s13, s10, 1
	s_cmp_ge_u32 s11, s44
	s_cselect_b32 s10, s13, s10
	s_xor_b32 s10, s10, s12
	s_sub_i32 s44, s10, s12
	s_load_dwordx2 s[12:13], s[4:5], 0xa8
	s_mul_i32 s10, s44, s17
	s_mul_i32 s36, s48, s36
	s_ashr_i32 s11, s10, 31
	s_add_u32 s17, s18, s36
	s_addc_u32 s18, s19, s37
	s_add_u32 s17, s17, s10
	s_waitcnt lgkmcnt(0)
	s_mul_i32 s13, s48, s13
	s_mul_hi_u32 s36, s48, s12
	s_addc_u32 s18, s18, s11
	s_add_i32 s13, s36, s13
	s_mul_i32 s36, s42, s12
	s_mul_i32 s44, s44, s39
	s_add_i32 s13, s13, s36
	s_mul_i32 s12, s48, s12
	s_ashr_i32 s36, s44, 31
	s_add_u32 s12, s20, s12
	s_mul_hi_u32 s27, s8, s47
	s_addc_u32 s13, s21, s13
	s_add_u32 s12, s12, s44
	s_mul_i32 s27, s27, s14
	s_addc_u32 s13, s13, s36
	s_sub_i32 s8, s8, s27
	v_mul_lo_u32 v86, v33, s38
	s_sub_i32 s20, s8, s14
	v_add_u32_e32 v108, s38, v86
	s_cmp_ge_u32 s8, s14
	v_add_u32_e32 v110, s38, v108
	s_cselect_b32 s8, s20, s8
	v_add_u32_e32 v112, s38, v110
	s_sub_i32 s20, s8, s14
	v_add_u32_e32 v114, s38, v112
	s_load_dwordx2 s[10:11], s[4:5], 0xc8
	s_load_dword s19, s[4:5], 0xd4
	s_cmp_ge_u32 s8, s14
	v_add_u32_e32 v116, s38, v114
	s_cselect_b32 s8, s20, s8
	v_add_u32_e32 v118, s38, v116
	s_xor_b32 s8, s8, s42
	v_add_u32_e32 v120, s38, v118
	s_sub_i32 s8, s8, s42
	v_add_u32_e32 v122, s38, v120
	s_ashr_i32 s14, s8, 31
	s_waitcnt lgkmcnt(0)
	s_mul_i32 s11, s8, s11
	s_mul_hi_u32 s20, s8, s10
	v_add_u32_e32 v124, s38, v122
	s_add_i32 s11, s20, s11
	s_mul_i32 s14, s14, s10
	v_add_u32_e32 v126, s38, v124
	s_add_i32 s11, s11, s14
	s_mul_i32 s8, s8, s10
	v_and_b32_e32 v34, 0x7c, v127
	v_mbcnt_hi_u32_b32 v36, -1, v141
	v_add_u32_e32 v128, s38, v126
	s_add_u32 s8, s22, s8
	v_add_u32_e32 v84, v33, v34
	v_and_b32_e32 v34, 0x7c, v36
	v_add_u32_e32 v130, s38, v128
	s_addc_u32 s10, s23, s11
	s_mul_i32 s11, s33, s15
	v_add_u32_e32 v34, 4, v34
	v_xor_b32_e32 v35, 2, v36
	v_add_u32_e32 v132, s38, v130
	s_ashr_i32 s14, s11, 31
	v_cmp_lt_i32_e32 vcc, v35, v34
	v_add_u32_e32 v134, s38, v132
	s_add_u32 s8, s8, s11
	s_mov_b32 s27, s43
	v_cndmask_b32_e32 v35, v36, v35, vcc
	v_add_u32_e32 v136, s38, v134
	s_addc_u32 s14, s10, s14
	s_lshl_b64 s[10:11], s[26:27], 1
	v_lshlrev_b32_e32 v145, 2, v35
	v_xor_b32_e32 v35, 1, v36
	v_add_u32_e32 v138, s38, v136
	s_add_u32 s36, s8, s10
	v_cmp_lt_i32_e32 vcc, v35, v34
	v_add_u32_e32 v140, s38, v138
	s_addc_u32 s37, s14, s11
	s_mul_i32 s8, s26, s38
	v_cndmask_b32_e32 v34, v36, v35, vcc
	v_add_u32_e32 v142, s38, v140
	s_add_u32 s8, s12, s8
	v_lshlrev_b32_e32 v147, 2, v34
	v_and_b32_e32 v34, 0x60, v36
	v_add_u32_e32 v144, s38, v142
	s_addc_u32 s27, s13, 0
	s_mul_i32 s10, s26, s16
	v_add_u32_e32 v37, 32, v34
	v_add_f32_e32 v149, v1, v1
	v_xor_b32_e32 v1, 4, v36
	v_add_u32_e32 v146, s38, v144
	s_add_u32 s39, s17, s10
	v_cmp_lt_i32_e32 vcc, v1, v37
	v_add_u32_e32 v148, s38, v146
	s_addc_u32 s47, s18, 0
	v_cndmask_b32_e32 v1, v36, v1, vcc
	v_add_u32_e32 v150, s38, v148
	s_cmp_lg_u64 s[22:23], 0
	v_lshlrev_b32_e32 v179, 2, v1
	v_xor_b32_e32 v1, 8, v36
	v_add_u32_e32 v152, s38, v150
	s_cselect_b64 s[10:11], -1, 0
	s_lshl_b32 s42, s19, 7
	v_cmp_lt_i32_e32 vcc, v1, v37
	v_add_u32_e32 v154, s38, v152
	s_cmp_lt_i32 s33, s34
	v_cndmask_b32_e32 v1, v36, v1, vcc
	v_add_u32_e32 v156, s38, v154
	s_cselect_b64 s[12:13], -1, 0
	v_lshlrev_b32_e32 v180, 2, v1
	v_xor_b32_e32 v1, 16, v36
	v_add_u32_e32 v158, s38, v156
	s_and_b64 s[22:23], s[10:11], s[12:13]
	s_or_b32 s12, s33, 1
	v_cmp_lt_i32_e32 vcc, v1, v37
	v_add_u32_e32 v160, s38, v158
	s_cmp_lt_i32 s12, s34
	v_cndmask_b32_e32 v1, v36, v1, vcc
	v_mul_lo_u32 v96, v84, s16
	v_add_u32_e32 v162, s38, v160
	s_cselect_b64 s[12:13], -1, 0
	v_lshlrev_b32_e32 v181, 2, v1
	v_add_u32_e32 v1, 0x80, v137
	s_ashr_i32 s17, s46, 31
	v_add_u32_e32 v98, s16, v96
	v_add_u32_e32 v164, s38, v162
	;; [unrolled: 1-line block ×3, first 2 shown]
	v_lshrrev_b32_e32 v88, 5, v1
	v_and_b32_e32 v90, 28, v1
	v_mov_b32_e32 v1, s17
	v_add_co_u32_e32 v36, vcc, s46, v84
	v_add_u32_e32 v100, s16, v98
	v_add_u32_e32 v166, s38, v164
	v_cmp_eq_u32_e64 s[20:21], 0, v32
	s_and_b64 s[44:45], s[10:11], s[12:13]
	v_ashrrev_i32_e32 v35, 31, v34
	v_cmp_eq_u32_e64 s[10:11], 1, v32
	v_cmp_eq_u32_e64 s[12:13], 2, v32
	;; [unrolled: 1-line block ×3, first 2 shown]
	v_addc_co_u32_e32 v37, vcc, 0, v1, vcc
	v_mov_b32_e32 v32, 0xfeffffff
	v_add_u32_e32 v102, s16, v100
	v_add_u32_e32 v168, s38, v166
	v_mov_b32_e32 v49, 0
	v_or_b32_e32 v143, 16, v50
	s_mul_i32 s49, s42, s16
	s_mul_i32 s50, s42, s38
	v_add_f32_e32 v151, v3, v3
	v_add_f32_e32 v153, v5, v5
	;; [unrolled: 1-line block ×15, first 2 shown]
	v_lshlrev_b32_e32 v182, 1, v33
	s_mov_b32 s46, 0x1000706
	v_lshlrev_b64 v[92:93], 1, v[34:35]
	s_mov_b32 s51, 0x3fb8aa3b
	s_mov_b32 s52, 0xc2ce8ed0
	;; [unrolled: 1-line block ×3, first 2 shown]
	v_lshlrev_b64 v[94:95], 1, v[36:37]
	v_mov_b32_e32 v48, 0
	v_mov_b32_e32 v33, v32
	;; [unrolled: 1-line block ×3, first 2 shown]
	v_ashrrev_i32_e32 v1, 31, v96
	v_ashrrev_i32_e32 v3, 31, v98
	;; [unrolled: 1-line block ×5, first 2 shown]
	v_bfe_u32 v104, v127, 3, 27
	v_and_b32_e32 v106, 28, v137
	v_ashrrev_i32_e32 v11, 31, v108
	v_ashrrev_i32_e32 v13, 31, v110
	;; [unrolled: 1-line block ×31, first 2 shown]
                                        ; implicit-def: $vgpr170
	s_branch .LBB28_22
.LBB28_21:                              ;   in Loop: Header=BB28_22 Depth=1
	buffer_load_dword v185, off, s[0:3], 0
	buffer_load_dword v188, off, s[0:3], 0 offset:4
	buffer_load_dword v189, off, s[0:3], 0 offset:8
	;; [unrolled: 1-line block ×3, first 2 shown]
	v_cndmask_b32_e64 v38, v171, v37, s[20:21]
	v_add_f32_e32 v37, 0x40051340, v37
	v_add_f32_e32 v45, 0x40051340, v40
	v_cndmask_b32_e64 v35, v170, v36, s[20:21]
	v_add_f32_e32 v36, 0x40051340, v36
	v_add_f32_e32 v43, 0x40051340, v39
	v_max3_f32 v37, v33, v37, v45
	v_add_f32_e32 v45, 0x40051340, v42
	v_add_f32_e32 v46, 0x40051340, v34
	v_max3_f32 v36, v32, v36, v43
	;; [unrolled: 3-line block ×3, first 2 shown]
	ds_bpermute_b32 v45, v179, v37
	v_max3_f32 v36, v36, v43, v44
	ds_bpermute_b32 v43, v179, v36
	buffer_load_dword v191, off, s[0:3], 0 offset:16
	buffer_load_dword v192, off, s[0:3], 0 offset:24
	v_cndmask_b32_e64 v35, v35, v39, s[10:11]
	s_waitcnt lgkmcnt(1)
	v_max_f32_e32 v39, v45, v45
	v_max_f32_e32 v37, v37, v39
	s_waitcnt lgkmcnt(0)
	v_max_f32_e32 v39, v43, v43
	v_cndmask_b32_e64 v38, v38, v40, s[10:11]
	ds_bpermute_b32 v40, v180, v37
	v_max_f32_e32 v36, v36, v39
	ds_bpermute_b32 v39, v180, v36
	v_cndmask_b32_e64 v41, v35, v41, s[12:13]
	v_cndmask_b32_e64 v35, v38, v42, s[12:13]
	s_waitcnt lgkmcnt(1)
	v_max_f32_e32 v38, v40, v40
	v_max_f32_e32 v37, v37, v38
	s_waitcnt lgkmcnt(0)
	v_max_f32_e32 v38, v39, v39
	ds_bpermute_b32 v39, v181, v37
	v_max_f32_e32 v36, v36, v38
	ds_bpermute_b32 v38, v181, v36
	v_cndmask_b32_e64 v35, v35, v34, s[14:15]
	v_cndmask_b32_e64 v34, v41, v199, s[14:15]
	s_waitcnt lgkmcnt(1)
	v_max_f32_e32 v39, v39, v39
	v_max_f32_e32 v173, v37, v39
	s_waitcnt lgkmcnt(0)
	v_max_f32_e32 v37, v38, v38
	v_max_f32_e32 v172, v36, v37
	v_pk_add_f32 v[34:35], v[34:35], v[172:173] neg_lo:[0,1] neg_hi:[0,1]
	v_mul_f32_e32 v36, 0x3fb8aa3b, v35
	v_fma_f32 v37, v35, s51, -v36
	v_rndne_f32_e32 v38, v36
	v_fmac_f32_e32 v37, 0x32a5705f, v35
	v_sub_f32_e32 v36, v36, v38
	v_add_f32_e32 v36, v36, v37
	v_cvt_i32_f32_e32 v37, v38
	v_mul_f32_e32 v38, 0x3fb8aa3b, v34
	v_fma_f32 v39, v34, s51, -v38
	v_rndne_f32_e32 v40, v38
	v_fmac_f32_e32 v39, 0x32a5705f, v34
	v_sub_f32_e32 v38, v38, v40
	v_exp_f32_e32 v36, v36
	v_add_f32_e32 v38, v38, v39
	v_exp_f32_e32 v38, v38
	v_cvt_i32_f32_e32 v39, v40
	v_ldexp_f32 v36, v36, v37
	v_cmp_ngt_f32_e32 vcc, s52, v35
	v_cndmask_b32_e32 v171, 0, v36, vcc
	v_ldexp_f32 v36, v38, v39
	v_cmp_ngt_f32_e32 vcc, s52, v34
	v_cndmask_b32_e32 v36, 0, v36, vcc
	v_cmp_nlt_f32_e32 vcc, s53, v34
	v_pk_add_f32 v[32:33], v[32:33], v[172:173] neg_lo:[0,1] neg_hi:[0,1]
	v_cndmask_b32_e32 v170, v183, v36, vcc
	v_mul_f32_e32 v36, 0x3fb8aa3b, v33
	v_fma_f32 v37, v33, s51, -v36
	v_rndne_f32_e32 v38, v36
	v_fmac_f32_e32 v37, 0x32a5705f, v33
	v_sub_f32_e32 v36, v36, v38
	v_add_f32_e32 v36, v36, v37
	v_exp_f32_e32 v193, v36
	v_mul_f32_e32 v36, 0x3fb8aa3b, v32
	v_rndne_f32_e32 v198, v36
	v_fma_f32 v197, v32, s51, -v36
	v_sub_f32_e32 v199, v36, v198
	v_mov_b32_e32 v184, s27
	v_add_co_u32_e32 v36, vcc, s8, v86
	v_addc_co_u32_e32 v37, vcc, v184, v9, vcc
	v_cvt_i32_f32_e32 v196, v38
	v_mad_u64_u32 v[38:39], s[16:17], v104, 34, v[36:37]
	v_add_co_u32_e32 v40, vcc, v38, v106
	v_addc_co_u32_e32 v41, vcc, 0, v39, vcc
	v_mad_u64_u32 v[36:37], s[16:17], v88, 34, v[36:37]
	buffer_load_dword v194, off, s[0:3], 0 offset:20
	buffer_load_dword v195, off, s[0:3], 0 offset:28
	global_load_dword v200, v[40:41], off offset:2
	v_add_co_u32_e32 v40, vcc, v36, v90
	v_addc_co_u32_e32 v41, vcc, 0, v37, vcc
	v_add_co_u32_e32 v42, vcc, s8, v108
	v_addc_co_u32_e32 v43, vcc, v184, v11, vcc
	v_mad_u64_u32 v[44:45], s[16:17], v104, 34, v[42:43]
	v_add_co_u32_e32 v46, vcc, v44, v106
	v_addc_co_u32_e32 v47, vcc, 0, v45, vcc
	v_mad_u64_u32 v[42:43], s[16:17], v88, 34, v[42:43]
	v_add_co_u32_e32 v186, vcc, v42, v90
	v_fmac_f32_e32 v197, 0x32a5705f, v32
	v_addc_co_u32_e32 v187, vcc, 0, v43, vcc
	global_load_dword v186, v[186:187], off offset:2
	s_nop 0
	global_load_ushort v187, v[42:43], off
	global_load_dword v201, v[46:47], off offset:2
	global_load_ushort v202, v[44:45], off
	global_load_dword v203, v[40:41], off offset:2
	global_load_ushort v204, v[36:37], off
	global_load_ushort v205, v[38:39], off
	v_add_f32_e32 v36, v199, v197
	v_exp_f32_e32 v36, v36
	v_cvt_i32_f32_e32 v37, v198
	v_cmp_nlt_f32_e32 vcc, s53, v35
	v_cndmask_b32_e32 v171, v183, v171, vcc
	v_cmp_ngt_f32_e32 vcc, s52, v32
	v_ldexp_f32 v35, v36, v37
	v_cvt_f16_f32_e32 v34, v170
	v_cndmask_b32_e32 v35, 0, v35, vcc
	v_cmp_nlt_f32_e32 vcc, s53, v32
	v_cndmask_b32_e32 v32, v183, v35, vcc
	v_cvt_f16_f32_e32 v35, v32
	ds_write_b16 v135, v34
	v_ldexp_f32 v34, v193, v196
	v_cmp_ngt_f32_e32 vcc, s52, v33
	v_cndmask_b32_e32 v34, 0, v34, vcc
	v_cmp_nlt_f32_e32 vcc, s53, v33
	v_cndmask_b32_e32 v33, v183, v34, vcc
	s_waitcnt vmcnt(15)
	v_pk_mul_f16 v185, v35, v185 op_sel_hi:[0,1]
	s_waitcnt vmcnt(14)
	v_pk_mul_f16 v188, v35, v188 op_sel_hi:[0,1]
	;; [unrolled: 2-line block ×4, first 2 shown]
	v_cvt_f16_f32_e32 v35, v171
	v_pk_fma_f32 v[48:49], v[48:49], v[32:33], v[170:171]
	v_add_co_u32_e32 v32, vcc, s8, v110
	v_cvt_f16_f32_e32 v190, v33
	v_addc_co_u32_e32 v33, vcc, v184, v13, vcc
	buffer_store_dword v34, off, s[0:3], 0 offset:12
	ds_write_b16 v135, v35 offset:256
	v_mad_u64_u32 v[34:35], s[16:17], v104, 34, v[32:33]
	buffer_load_dword v193, off, s[0:3], 0 offset:12
	v_add_co_u32_e32 v36, vcc, v34, v106
	v_addc_co_u32_e32 v37, vcc, 0, v35, vcc
	v_mad_u64_u32 v[32:33], s[16:17], v88, 34, v[32:33]
	global_load_dword v196, v[36:37], off offset:2
	v_add_co_u32_e32 v36, vcc, v32, v90
	v_addc_co_u32_e32 v37, vcc, 0, v33, vcc
	v_add_co_u32_e32 v38, vcc, s8, v112
	v_addc_co_u32_e32 v39, vcc, v184, v15, vcc
	v_mad_u64_u32 v[40:41], s[16:17], v104, 34, v[38:39]
	v_add_co_u32_e32 v42, vcc, v40, v106
	v_addc_co_u32_e32 v43, vcc, 0, v41, vcc
	v_mad_u64_u32 v[38:39], s[16:17], v88, 34, v[38:39]
	s_waitcnt vmcnt(13)
	v_pk_mul_f16 v192, v190, v192 op_sel_hi:[0,1]
	v_add_co_u32_e32 v44, vcc, v38, v90
	buffer_store_dword v185, off, s[0:3], 0
	buffer_store_dword v188, off, s[0:3], 0 offset:4
	buffer_store_dword v189, off, s[0:3], 0 offset:8
	;; [unrolled: 1-line block ×3, first 2 shown]
	v_addc_co_u32_e32 v45, vcc, 0, v39, vcc
	global_load_dword v206, v[44:45], off offset:2
	global_load_ushort v207, v[38:39], off
	global_load_dword v208, v[42:43], off offset:2
	global_load_ushort v209, v[40:41], off
	;; [unrolled: 2-line block ×3, first 2 shown]
	global_load_ushort v199, v[34:35], off
	ds_read_b128 v[40:43], v182 offset:256
	ds_read_b128 v[44:47], v182
	ds_read_b128 v[36:39], v182 offset:16
	s_waitcnt vmcnt(21)
	v_cvt_f16_i16_sdwa v33, sext(v200) dst_sel:DWORD dst_unused:UNUSED_PAD src0_sel:BYTE_0
	v_cvt_f16_i16_sdwa v34, sext(v200) dst_sel:DWORD dst_unused:UNUSED_PAD src0_sel:BYTE_1
	v_lshrrev_b32_e32 v32, 16, v200
	v_pack_b32_f16 v33, v33, v34
	v_pk_mul_f16 v195, v190, v195 op_sel_hi:[0,1]
	buffer_store_dword v195, off, s[0:3], 0 offset:28
	s_add_i32 s26, s42, s26
	s_add_u32 s39, s39, s49
	s_addc_u32 s47, s47, 0
	s_waitcnt vmcnt(15)
	v_pk_mul_f16 v200, v33, v205 op_sel_hi:[1,0]
	v_cvt_f16_i16_sdwa v33, sext(v32) dst_sel:DWORD dst_unused:UNUSED_PAD src0_sel:BYTE_0
	v_cvt_f16_i16_sdwa v32, sext(v32) dst_sel:DWORD dst_unused:UNUSED_PAD src0_sel:BYTE_1
	v_pack_b32_f16 v32, v33, v32
	v_pk_mul_f16 v205, v205, v32 op_sel_hi:[0,1]
	s_waitcnt lgkmcnt(1)
	v_pk_fma_f16 v185, v200, v44, v185 op_sel_hi:[1,0,1]
	ds_read_b128 v[32:35], v182 offset:272
	v_pk_mul_f16 v200, v200, v40 op_sel_hi:[1,0]
	v_pk_fma_f16 v191, v190, v191, v200 op_sel_hi:[0,1,1]
	v_pk_mul_f16 v200, v205, v40 op_sel_hi:[1,0]
	v_pk_fma_f16 v190, v190, v194, v200 op_sel_hi:[0,1,1]
	v_lshrrev_b32_e32 v194, 16, v203
	v_cvt_f16_i16_sdwa v200, sext(v203) dst_sel:DWORD dst_unused:UNUSED_PAD src0_sel:BYTE_0
	v_cvt_f16_i16_sdwa v203, sext(v203) dst_sel:DWORD dst_unused:UNUSED_PAD src0_sel:BYTE_1
	v_pack_b32_f16 v200, v200, v203
	v_cvt_f16_i16_sdwa v203, sext(v194) dst_sel:DWORD dst_unused:UNUSED_PAD src0_sel:BYTE_0
	v_cvt_f16_i16_sdwa v194, sext(v194) dst_sel:DWORD dst_unused:UNUSED_PAD src0_sel:BYTE_1
	v_pack_b32_f16 v194, v203, v194
	v_pk_mul_f16 v200, v200, v204 op_sel_hi:[1,0]
	v_pk_mul_f16 v194, v204, v194 op_sel_hi:[0,1]
	v_pk_fma_f16 v189, v200, v44, v189 op_sel_hi:[1,0,1]
	v_pk_fma_f16 v192, v200, v40, v192 op_sel_hi:[1,0,1]
	v_cvt_f16_i16_sdwa v200, sext(v201) dst_sel:DWORD dst_unused:UNUSED_PAD src0_sel:BYTE_0
	v_pk_fma_f16 v188, v205, v44, v188 op_sel_hi:[1,0,1]
	buffer_store_dword v185, off, s[0:3], 0
	buffer_store_dword v191, off, s[0:3], 0 offset:16
	buffer_store_dword v188, off, s[0:3], 0 offset:4
	;; [unrolled: 1-line block ×5, first 2 shown]
	s_waitcnt vmcnt(19)
	v_pk_fma_f16 v193, v194, v44, v193 op_sel_hi:[1,0,1]
	v_pk_fma_f16 v194, v194, v40, v195 op_sel_hi:[1,0,1]
	v_lshrrev_b32_e32 v195, 16, v201
	v_cvt_f16_i16_sdwa v201, sext(v201) dst_sel:DWORD dst_unused:UNUSED_PAD src0_sel:BYTE_1
	v_pack_b32_f16 v200, v200, v201
	v_cvt_f16_i16_sdwa v201, sext(v195) dst_sel:DWORD dst_unused:UNUSED_PAD src0_sel:BYTE_0
	v_cvt_f16_i16_sdwa v195, sext(v195) dst_sel:DWORD dst_unused:UNUSED_PAD src0_sel:BYTE_1
	v_pack_b32_f16 v195, v201, v195
	v_pk_mul_f16 v200, v200, v202 op_sel_hi:[1,0]
	v_pk_mul_f16 v195, v202, v195 op_sel_hi:[0,1]
	v_pk_fma_f16 v185, v200, v44, v185 op_sel:[0,1,0]
	v_pk_fma_f16 v191, v200, v40, v191 op_sel:[0,1,0]
	;; [unrolled: 1-line block ×4, first 2 shown]
	v_lshrrev_b32_e32 v195, 16, v186
	v_cvt_f16_i16_sdwa v200, sext(v186) dst_sel:DWORD dst_unused:UNUSED_PAD src0_sel:BYTE_0
	v_cvt_f16_i16_sdwa v186, sext(v186) dst_sel:DWORD dst_unused:UNUSED_PAD src0_sel:BYTE_1
	v_pack_b32_f16 v186, v200, v186
	v_cvt_f16_i16_sdwa v200, sext(v195) dst_sel:DWORD dst_unused:UNUSED_PAD src0_sel:BYTE_0
	v_cvt_f16_i16_sdwa v195, sext(v195) dst_sel:DWORD dst_unused:UNUSED_PAD src0_sel:BYTE_1
	v_pack_b32_f16 v195, v200, v195
	v_pk_mul_f16 v186, v186, v187 op_sel_hi:[1,0]
	v_pk_mul_f16 v187, v187, v195 op_sel_hi:[0,1]
	buffer_store_dword v193, off, s[0:3], 0 offset:12
	v_pk_fma_f16 v189, v186, v44, v189 op_sel:[0,1,0]
	v_pk_fma_f16 v186, v186, v40, v192 op_sel:[0,1,0]
	;; [unrolled: 1-line block ×4, first 2 shown]
	s_waitcnt vmcnt(19)
	v_lshrrev_b32_e32 v187, 16, v196
	v_cvt_f16_i16_sdwa v192, sext(v196) dst_sel:DWORD dst_unused:UNUSED_PAD src0_sel:BYTE_0
	v_cvt_f16_i16_sdwa v193, sext(v196) dst_sel:DWORD dst_unused:UNUSED_PAD src0_sel:BYTE_1
	v_pack_b32_f16 v192, v192, v193
	v_cvt_f16_i16_sdwa v193, sext(v187) dst_sel:DWORD dst_unused:UNUSED_PAD src0_sel:BYTE_0
	v_cvt_f16_i16_sdwa v187, sext(v187) dst_sel:DWORD dst_unused:UNUSED_PAD src0_sel:BYTE_1
	v_pack_b32_f16 v187, v193, v187
	s_waitcnt vmcnt(8)
	v_pk_mul_f16 v187, v199, v187 op_sel_hi:[0,1]
	buffer_store_dword v188, off, s[0:3], 0 offset:4
	buffer_store_dword v190, off, s[0:3], 0 offset:20
	v_pk_fma_f16 v201, v187, v45, v188 op_sel_hi:[1,0,1]
	v_pk_fma_f16 v202, v187, v41, v190 op_sel_hi:[1,0,1]
	v_lshrrev_b32_e32 v187, 16, v197
	v_cvt_f16_i16_sdwa v188, sext(v197) dst_sel:DWORD dst_unused:UNUSED_PAD src0_sel:BYTE_0
	v_cvt_f16_i16_sdwa v190, sext(v197) dst_sel:DWORD dst_unused:UNUSED_PAD src0_sel:BYTE_1
	v_pack_b32_f16 v188, v188, v190
	v_cvt_f16_i16_sdwa v190, sext(v187) dst_sel:DWORD dst_unused:UNUSED_PAD src0_sel:BYTE_0
	v_cvt_f16_i16_sdwa v187, sext(v187) dst_sel:DWORD dst_unused:UNUSED_PAD src0_sel:BYTE_1
	v_pk_mul_f16 v188, v188, v198 op_sel_hi:[1,0]
	v_pack_b32_f16 v187, v190, v187
	buffer_store_dword v186, off, s[0:3], 0 offset:24
	v_pk_mul_f16 v187, v198, v187 op_sel_hi:[0,1]
	v_pk_fma_f16 v204, v188, v41, v186 op_sel_hi:[1,0,1]
	v_add_co_u32_e32 v186, vcc, s8, v114
	buffer_store_dword v194, off, s[0:3], 0 offset:28
	buffer_store_dword v44, off, s[0:3], 0 offset:12
	;; [unrolled: 1-line block ×3, first 2 shown]
	v_pk_fma_f16 v44, v187, v45, v44 op_sel_hi:[1,0,1]
	v_pk_fma_f16 v40, v187, v41, v40 op_sel_hi:[1,0,1]
	v_addc_co_u32_e32 v187, vcc, v184, v17, vcc
	buffer_store_dword v189, off, s[0:3], 0 offset:8
	v_pk_fma_f16 v203, v188, v45, v189 op_sel_hi:[1,0,1]
	v_mad_u64_u32 v[188:189], s[16:17], v104, 34, v[186:187]
	v_pk_mul_f16 v192, v192, v199 op_sel_hi:[1,0]
	v_add_co_u32_e32 v190, vcc, v188, v106
	buffer_store_dword v191, off, s[0:3], 0 offset:16
	v_pk_fma_f16 v200, v192, v41, v191 op_sel_hi:[1,0,1]
	v_addc_co_u32_e32 v191, vcc, 0, v189, vcc
	v_mad_u64_u32 v[186:187], s[16:17], v88, 34, v[186:187]
	global_load_dword v205, v[190:191], off offset:2
	v_add_co_u32_e32 v190, vcc, v186, v90
	v_addc_co_u32_e32 v191, vcc, 0, v187, vcc
	buffer_store_dword v185, off, s[0:3], 0
	v_pk_fma_f16 v185, v192, v45, v185 op_sel_hi:[1,0,1]
	v_add_co_u32_e32 v192, vcc, s8, v116
	v_addc_co_u32_e32 v193, vcc, v184, v19, vcc
	v_mad_u64_u32 v[194:195], s[16:17], v104, 34, v[192:193]
	v_add_co_u32_e32 v196, vcc, v194, v106
	v_addc_co_u32_e32 v197, vcc, 0, v195, vcc
	v_mad_u64_u32 v[192:193], s[16:17], v88, 34, v[192:193]
	v_add_co_u32_e32 v198, vcc, v192, v90
	buffer_store_dword v185, off, s[0:3], 0
	buffer_store_dword v200, off, s[0:3], 0 offset:16
	buffer_store_dword v201, off, s[0:3], 0 offset:4
	;; [unrolled: 1-line block ×6, first 2 shown]
	v_addc_co_u32_e32 v199, vcc, 0, v193, vcc
	global_load_dword v210, v[198:199], off offset:2
	global_load_ushort v211, v[192:193], off
	global_load_dword v212, v[196:197], off offset:2
	global_load_ushort v213, v[194:195], off
	;; [unrolled: 2-line block ×3, first 2 shown]
	global_load_ushort v216, v[188:189], off
	v_lshrrev_b32_e32 v186, 16, v208
	v_cvt_f16_i16_sdwa v187, sext(v208) dst_sel:DWORD dst_unused:UNUSED_PAD src0_sel:BYTE_0
	v_cvt_f16_i16_sdwa v188, sext(v208) dst_sel:DWORD dst_unused:UNUSED_PAD src0_sel:BYTE_1
	v_pack_b32_f16 v187, v187, v188
	v_cvt_f16_i16_sdwa v188, sext(v186) dst_sel:DWORD dst_unused:UNUSED_PAD src0_sel:BYTE_0
	v_cvt_f16_i16_sdwa v186, sext(v186) dst_sel:DWORD dst_unused:UNUSED_PAD src0_sel:BYTE_1
	v_pk_mul_f16 v187, v187, v209 op_sel_hi:[1,0]
	v_pack_b32_f16 v186, v188, v186
	v_pk_mul_f16 v186, v209, v186 op_sel_hi:[0,1]
	v_pk_fma_f16 v185, v187, v45, v185 op_sel:[0,1,0]
	v_pk_fma_f16 v200, v187, v41, v200 op_sel:[0,1,0]
	v_cvt_f16_i16_sdwa v187, sext(v206) dst_sel:DWORD dst_unused:UNUSED_PAD src0_sel:BYTE_0
	v_cvt_f16_i16_sdwa v188, sext(v206) dst_sel:DWORD dst_unused:UNUSED_PAD src0_sel:BYTE_1
	v_pk_fma_f16 v201, v186, v45, v201 op_sel:[0,1,0]
	v_pk_fma_f16 v202, v186, v41, v202 op_sel:[0,1,0]
	v_lshrrev_b32_e32 v186, 16, v206
	v_pack_b32_f16 v187, v187, v188
	v_pk_mul_f16 v206, v187, v207 op_sel_hi:[1,0]
	v_cvt_f16_i16_sdwa v187, sext(v186) dst_sel:DWORD dst_unused:UNUSED_PAD src0_sel:BYTE_0
	v_cvt_f16_i16_sdwa v186, sext(v186) dst_sel:DWORD dst_unused:UNUSED_PAD src0_sel:BYTE_1
	v_pack_b32_f16 v186, v187, v186
	v_pk_mul_f16 v207, v207, v186 op_sel_hi:[0,1]
	v_add_co_u32_e32 v186, vcc, s8, v118
	v_addc_co_u32_e32 v187, vcc, v184, v21, vcc
	v_mad_u64_u32 v[188:189], s[16:17], v104, 34, v[186:187]
	v_add_co_u32_e32 v190, vcc, v188, v106
	v_addc_co_u32_e32 v191, vcc, 0, v189, vcc
	v_mad_u64_u32 v[186:187], s[16:17], v88, 34, v[186:187]
	global_load_dword v208, v[190:191], off offset:2
	v_add_co_u32_e32 v190, vcc, v186, v90
	v_addc_co_u32_e32 v191, vcc, 0, v187, vcc
	v_add_co_u32_e32 v192, vcc, s8, v120
	v_addc_co_u32_e32 v193, vcc, v184, v23, vcc
	v_mad_u64_u32 v[194:195], s[16:17], v104, 34, v[192:193]
	v_add_co_u32_e32 v196, vcc, v194, v106
	v_addc_co_u32_e32 v197, vcc, 0, v195, vcc
	v_mad_u64_u32 v[192:193], s[16:17], v88, 34, v[192:193]
	v_add_co_u32_e32 v198, vcc, v192, v90
	buffer_store_dword v40, off, s[0:3], 0 offset:28
	buffer_store_dword v185, off, s[0:3], 0
	buffer_store_dword v200, off, s[0:3], 0 offset:16
	buffer_store_dword v201, off, s[0:3], 0 offset:4
	;; [unrolled: 1-line block ×3, first 2 shown]
	v_addc_co_u32_e32 v199, vcc, 0, v193, vcc
	global_load_dword v198, v[198:199], off offset:2
	s_nop 0
	global_load_ushort v199, v[192:193], off
	s_nop 0
	global_load_dword v196, v[196:197], off offset:2
	s_nop 0
	global_load_ushort v197, v[194:195], off
	s_nop 0
	;; [unrolled: 4-line block ×3, first 2 shown]
	global_load_ushort v187, v[188:189], off
	v_pk_fma_f16 v203, v206, v45, v203 op_sel:[0,1,0]
	v_pk_fma_f16 v188, v206, v41, v204 op_sel:[0,1,0]
	;; [unrolled: 1-line block ×4, first 2 shown]
	s_waitcnt vmcnt(28)
	v_lshrrev_b32_e32 v41, 16, v205
	v_cvt_f16_i16_sdwa v45, sext(v205) dst_sel:DWORD dst_unused:UNUSED_PAD src0_sel:BYTE_0
	v_cvt_f16_i16_sdwa v189, sext(v205) dst_sel:DWORD dst_unused:UNUSED_PAD src0_sel:BYTE_1
	buffer_store_dword v188, off, s[0:3], 0 offset:24
	buffer_store_dword v44, off, s[0:3], 0 offset:12
	;; [unrolled: 1-line block ×3, first 2 shown]
	v_pack_b32_f16 v45, v45, v189
	v_cvt_f16_i16_sdwa v189, sext(v41) dst_sel:DWORD dst_unused:UNUSED_PAD src0_sel:BYTE_0
	v_cvt_f16_i16_sdwa v41, sext(v41) dst_sel:DWORD dst_unused:UNUSED_PAD src0_sel:BYTE_1
	v_pack_b32_f16 v41, v189, v41
	s_waitcnt vmcnt(20)
	v_cvt_f16_i16_sdwa v194, sext(v212) dst_sel:DWORD dst_unused:UNUSED_PAD src0_sel:BYTE_1
	buffer_store_dword v203, off, s[0:3], 0 offset:8
	s_waitcnt vmcnt(19)
	v_lshrrev_b32_e32 v191, 16, v214
	v_cvt_f16_i16_sdwa v192, sext(v214) dst_sel:DWORD dst_unused:UNUSED_PAD src0_sel:BYTE_0
	v_cvt_f16_i16_sdwa v193, sext(v214) dst_sel:DWORD dst_unused:UNUSED_PAD src0_sel:BYTE_1
	v_pack_b32_f16 v192, v192, v193
	v_cvt_f16_i16_sdwa v193, sext(v191) dst_sel:DWORD dst_unused:UNUSED_PAD src0_sel:BYTE_0
	v_cvt_f16_i16_sdwa v191, sext(v191) dst_sel:DWORD dst_unused:UNUSED_PAD src0_sel:BYTE_1
	v_pack_b32_f16 v191, v193, v191
	s_waitcnt vmcnt(18)
	v_pk_mul_f16 v192, v192, v215 op_sel_hi:[1,0]
	v_pk_mul_f16 v191, v215, v191 op_sel_hi:[0,1]
	v_pk_fma_f16 v193, v192, v46, v203 op_sel_hi:[1,0,1]
	v_pk_fma_f16 v188, v192, v42, v188 op_sel_hi:[1,0,1]
	;; [unrolled: 1-line block ×4, first 2 shown]
	v_lshrrev_b32_e32 v191, 16, v212
	v_cvt_f16_i16_sdwa v192, sext(v212) dst_sel:DWORD dst_unused:UNUSED_PAD src0_sel:BYTE_0
	v_pack_b32_f16 v192, v192, v194
	v_cvt_f16_i16_sdwa v194, sext(v191) dst_sel:DWORD dst_unused:UNUSED_PAD src0_sel:BYTE_0
	v_cvt_f16_i16_sdwa v191, sext(v191) dst_sel:DWORD dst_unused:UNUSED_PAD src0_sel:BYTE_1
	s_waitcnt vmcnt(17)
	v_pk_mul_f16 v45, v45, v216 op_sel_hi:[1,0]
	v_pk_mul_f16 v41, v216, v41 op_sel_hi:[0,1]
	v_pack_b32_f16 v191, v194, v191
	v_pk_fma_f16 v185, v45, v46, v185 op_sel_hi:[1,0,1]
	v_pk_fma_f16 v45, v45, v42, v200 op_sel_hi:[1,0,1]
	;; [unrolled: 1-line block ×4, first 2 shown]
	v_pk_mul_f16 v192, v192, v213 op_sel_hi:[1,0]
	v_pk_mul_f16 v191, v213, v191 op_sel_hi:[0,1]
	buffer_store_dword v185, off, s[0:3], 0
	buffer_store_dword v45, off, s[0:3], 0 offset:16
	buffer_store_dword v189, off, s[0:3], 0 offset:4
	;; [unrolled: 1-line block ×3, first 2 shown]
	v_pk_fma_f16 v185, v192, v46, v185 op_sel:[0,1,0]
	v_pk_fma_f16 v45, v192, v42, v45 op_sel:[0,1,0]
	;; [unrolled: 1-line block ×4, first 2 shown]
	v_lshrrev_b32_e32 v191, 16, v210
	v_cvt_f16_i16_sdwa v192, sext(v210) dst_sel:DWORD dst_unused:UNUSED_PAD src0_sel:BYTE_0
	v_cvt_f16_i16_sdwa v194, sext(v210) dst_sel:DWORD dst_unused:UNUSED_PAD src0_sel:BYTE_1
	v_pack_b32_f16 v192, v192, v194
	v_cvt_f16_i16_sdwa v194, sext(v191) dst_sel:DWORD dst_unused:UNUSED_PAD src0_sel:BYTE_0
	v_cvt_f16_i16_sdwa v191, sext(v191) dst_sel:DWORD dst_unused:UNUSED_PAD src0_sel:BYTE_1
	v_pack_b32_f16 v191, v194, v191
	v_pk_mul_f16 v192, v192, v211 op_sel_hi:[1,0]
	v_pk_mul_f16 v191, v211, v191 op_sel_hi:[0,1]
	buffer_store_dword v193, off, s[0:3], 0 offset:8
	buffer_store_dword v188, off, s[0:3], 0 offset:24
	;; [unrolled: 1-line block ×4, first 2 shown]
	v_pk_fma_f16 v193, v192, v46, v193 op_sel:[0,1,0]
	v_pk_fma_f16 v188, v192, v42, v188 op_sel:[0,1,0]
	;; [unrolled: 1-line block ×4, first 2 shown]
	s_waitcnt vmcnt(24)
	v_lshrrev_b32_e32 v42, 16, v208
	v_cvt_f16_i16_sdwa v46, sext(v208) dst_sel:DWORD dst_unused:UNUSED_PAD src0_sel:BYTE_0
	v_cvt_f16_i16_sdwa v191, sext(v208) dst_sel:DWORD dst_unused:UNUSED_PAD src0_sel:BYTE_1
	v_pack_b32_f16 v46, v46, v191
	v_cvt_f16_i16_sdwa v191, sext(v42) dst_sel:DWORD dst_unused:UNUSED_PAD src0_sel:BYTE_0
	v_cvt_f16_i16_sdwa v42, sext(v42) dst_sel:DWORD dst_unused:UNUSED_PAD src0_sel:BYTE_1
	v_pack_b32_f16 v42, v191, v42
	buffer_store_dword v185, off, s[0:3], 0
	buffer_store_dword v45, off, s[0:3], 0 offset:16
	buffer_store_dword v41, off, s[0:3], 0 offset:20
	;; [unrolled: 1-line block ×3, first 2 shown]
	s_waitcnt vmcnt(16)
	v_pk_mul_f16 v46, v46, v187 op_sel_hi:[1,0]
	v_pk_mul_f16 v42, v187, v42 op_sel_hi:[0,1]
	v_pk_fma_f16 v185, v46, v47, v185 op_sel_hi:[1,0,1]
	v_pk_fma_f16 v46, v46, v43, v45 op_sel_hi:[1,0,1]
	;; [unrolled: 1-line block ×4, first 2 shown]
	v_lshrrev_b32_e32 v41, 16, v190
	v_cvt_f16_i16_sdwa v45, sext(v190) dst_sel:DWORD dst_unused:UNUSED_PAD src0_sel:BYTE_0
	v_cvt_f16_i16_sdwa v187, sext(v190) dst_sel:DWORD dst_unused:UNUSED_PAD src0_sel:BYTE_1
	v_pack_b32_f16 v45, v45, v187
	v_cvt_f16_i16_sdwa v187, sext(v41) dst_sel:DWORD dst_unused:UNUSED_PAD src0_sel:BYTE_0
	v_cvt_f16_i16_sdwa v41, sext(v41) dst_sel:DWORD dst_unused:UNUSED_PAD src0_sel:BYTE_1
	v_pack_b32_f16 v41, v187, v41
	v_pk_mul_f16 v41, v186, v41 op_sel_hi:[0,1]
	v_pk_fma_f16 v204, v41, v43, v40 op_sel_hi:[1,0,1]
	v_add_co_u32_e32 v40, vcc, s8, v122
	v_pk_mul_f16 v45, v45, v186 op_sel_hi:[1,0]
	v_pk_fma_f16 v203, v41, v47, v44 op_sel_hi:[1,0,1]
	v_addc_co_u32_e32 v41, vcc, v184, v25, vcc
	buffer_store_dword v44, off, s[0:3], 0 offset:12
	v_pk_fma_f16 v201, v45, v47, v193 op_sel_hi:[1,0,1]
	v_pk_fma_f16 v202, v45, v43, v188 op_sel_hi:[1,0,1]
	v_mad_u64_u32 v[44:45], s[16:17], v104, 34, v[40:41]
	v_add_co_u32_e32 v186, vcc, v44, v106
	v_addc_co_u32_e32 v187, vcc, 0, v45, vcc
	v_mad_u64_u32 v[40:41], s[16:17], v88, 34, v[40:41]
	global_load_dword v205, v[186:187], off offset:2
	v_add_co_u32_e32 v186, vcc, v40, v90
	v_addc_co_u32_e32 v187, vcc, 0, v41, vcc
	buffer_store_dword v188, off, s[0:3], 0 offset:24
	v_add_co_u32_e32 v188, vcc, s8, v124
	buffer_store_dword v189, off, s[0:3], 0 offset:4
	v_addc_co_u32_e32 v189, vcc, v184, v27, vcc
	v_mad_u64_u32 v[190:191], s[16:17], v104, 34, v[188:189]
	v_add_co_u32_e32 v192, vcc, v190, v106
	buffer_store_dword v193, off, s[0:3], 0 offset:8
	v_addc_co_u32_e32 v193, vcc, 0, v191, vcc
	v_mad_u64_u32 v[188:189], s[16:17], v88, 34, v[188:189]
	v_add_co_u32_e32 v194, vcc, v188, v90
	buffer_store_dword v185, off, s[0:3], 0
	buffer_store_dword v46, off, s[0:3], 0 offset:16
	buffer_store_dword v200, off, s[0:3], 0 offset:4
	;; [unrolled: 1-line block ×6, first 2 shown]
	v_addc_co_u32_e32 v195, vcc, 0, v189, vcc
	global_load_dword v206, v[194:195], off offset:2
	global_load_ushort v207, v[188:189], off
	global_load_dword v208, v[192:193], off offset:2
	global_load_ushort v209, v[190:191], off
	;; [unrolled: 2-line block ×3, first 2 shown]
	global_load_ushort v212, v[44:45], off
	v_lshrrev_b32_e32 v40, 16, v196
	v_cvt_f16_i16_sdwa v41, sext(v196) dst_sel:DWORD dst_unused:UNUSED_PAD src0_sel:BYTE_0
	v_cvt_f16_i16_sdwa v44, sext(v196) dst_sel:DWORD dst_unused:UNUSED_PAD src0_sel:BYTE_1
	v_pack_b32_f16 v41, v41, v44
	v_cvt_f16_i16_sdwa v44, sext(v40) dst_sel:DWORD dst_unused:UNUSED_PAD src0_sel:BYTE_0
	v_cvt_f16_i16_sdwa v40, sext(v40) dst_sel:DWORD dst_unused:UNUSED_PAD src0_sel:BYTE_1
	v_pk_mul_f16 v41, v41, v197 op_sel_hi:[1,0]
	v_pack_b32_f16 v40, v44, v40
	v_pk_mul_f16 v40, v197, v40 op_sel_hi:[0,1]
	v_pk_fma_f16 v185, v41, v47, v185 op_sel:[0,1,0]
	v_pk_fma_f16 v46, v41, v43, v46 op_sel:[0,1,0]
	v_cvt_f16_i16_sdwa v41, sext(v198) dst_sel:DWORD dst_unused:UNUSED_PAD src0_sel:BYTE_0
	v_cvt_f16_i16_sdwa v44, sext(v198) dst_sel:DWORD dst_unused:UNUSED_PAD src0_sel:BYTE_1
	v_pk_fma_f16 v196, v40, v47, v200 op_sel:[0,1,0]
	v_pk_fma_f16 v42, v40, v43, v42 op_sel:[0,1,0]
	v_lshrrev_b32_e32 v40, 16, v198
	v_pack_b32_f16 v41, v41, v44
	v_pk_mul_f16 v197, v41, v199 op_sel_hi:[1,0]
	v_cvt_f16_i16_sdwa v41, sext(v40) dst_sel:DWORD dst_unused:UNUSED_PAD src0_sel:BYTE_0
	v_cvt_f16_i16_sdwa v40, sext(v40) dst_sel:DWORD dst_unused:UNUSED_PAD src0_sel:BYTE_1
	v_pack_b32_f16 v40, v41, v40
	v_pk_mul_f16 v198, v199, v40 op_sel_hi:[0,1]
	v_add_co_u32_e32 v40, vcc, s8, v126
	v_addc_co_u32_e32 v41, vcc, v184, v29, vcc
	v_mad_u64_u32 v[44:45], s[16:17], v104, 34, v[40:41]
	v_add_co_u32_e32 v186, vcc, v44, v106
	v_addc_co_u32_e32 v187, vcc, 0, v45, vcc
	v_mad_u64_u32 v[40:41], s[16:17], v88, 34, v[40:41]
	global_load_dword v200, v[186:187], off offset:2
	v_add_co_u32_e32 v186, vcc, v40, v90
	v_addc_co_u32_e32 v187, vcc, 0, v41, vcc
	v_add_co_u32_e32 v188, vcc, s8, v128
	v_addc_co_u32_e32 v189, vcc, v184, v31, vcc
	v_mad_u64_u32 v[190:191], s[16:17], v104, 34, v[188:189]
	v_add_co_u32_e32 v192, vcc, v190, v106
	v_addc_co_u32_e32 v193, vcc, 0, v191, vcc
	v_mad_u64_u32 v[188:189], s[16:17], v88, 34, v[188:189]
	v_add_co_u32_e32 v194, vcc, v188, v90
	buffer_store_dword v204, off, s[0:3], 0 offset:28
	buffer_store_dword v185, off, s[0:3], 0
	buffer_store_dword v46, off, s[0:3], 0 offset:16
	buffer_store_dword v196, off, s[0:3], 0 offset:4
	;; [unrolled: 1-line block ×3, first 2 shown]
	v_addc_co_u32_e32 v195, vcc, 0, v189, vcc
	global_load_dword v194, v[194:195], off offset:2
	s_nop 0
	global_load_ushort v195, v[188:189], off
	s_nop 0
	global_load_dword v192, v[192:193], off offset:2
	s_nop 0
	global_load_ushort v193, v[190:191], off
	s_nop 0
	;; [unrolled: 4-line block ×3, first 2 shown]
	global_load_ushort v41, v[44:45], off
	v_pk_fma_f16 v199, v197, v47, v201 op_sel:[0,1,0]
	v_pk_fma_f16 v45, v198, v47, v203 op_sel:[0,1,0]
	s_waitcnt vmcnt(30)
	v_lshrrev_b32_e32 v47, 16, v205
	v_cvt_f16_i16_sdwa v187, sext(v205) dst_sel:DWORD dst_unused:UNUSED_PAD src0_sel:BYTE_0
	v_cvt_f16_i16_sdwa v188, sext(v205) dst_sel:DWORD dst_unused:UNUSED_PAD src0_sel:BYTE_1
	v_pack_b32_f16 v187, v187, v188
	v_cvt_f16_i16_sdwa v188, sext(v47) dst_sel:DWORD dst_unused:UNUSED_PAD src0_sel:BYTE_0
	v_cvt_f16_i16_sdwa v47, sext(v47) dst_sel:DWORD dst_unused:UNUSED_PAD src0_sel:BYTE_1
	v_pack_b32_f16 v47, v188, v47
	v_pk_fma_f16 v44, v197, v43, v202 op_sel:[0,1,0]
	v_pk_fma_f16 v43, v198, v43, v204 op_sel:[0,1,0]
	buffer_store_dword v44, off, s[0:3], 0 offset:24
	buffer_store_dword v45, off, s[0:3], 0 offset:12
	;; [unrolled: 1-line block ×3, first 2 shown]
	s_waitcnt vmcnt(20)
	v_cvt_f16_i16_sdwa v190, sext(v208) dst_sel:DWORD dst_unused:UNUSED_PAD src0_sel:BYTE_1
	buffer_store_dword v199, off, s[0:3], 0 offset:8
	s_waitcnt vmcnt(19)
	v_cvt_f16_i16_sdwa v188, sext(v210) dst_sel:DWORD dst_unused:UNUSED_PAD src0_sel:BYTE_0
	v_cvt_f16_i16_sdwa v189, sext(v210) dst_sel:DWORD dst_unused:UNUSED_PAD src0_sel:BYTE_1
	s_waitcnt vmcnt(17)
	v_pk_mul_f16 v187, v187, v212 op_sel_hi:[1,0]
	v_pk_mul_f16 v47, v212, v47 op_sel_hi:[0,1]
	s_waitcnt lgkmcnt(1)
	v_pk_fma_f16 v185, v187, v36, v185 op_sel_hi:[1,0,1]
	s_waitcnt lgkmcnt(0)
	v_pk_fma_f16 v46, v187, v32, v46 op_sel_hi:[1,0,1]
	v_pk_fma_f16 v187, v47, v36, v196 op_sel_hi:[1,0,1]
	;; [unrolled: 1-line block ×3, first 2 shown]
	v_lshrrev_b32_e32 v47, 16, v210
	v_pack_b32_f16 v188, v188, v189
	v_cvt_f16_i16_sdwa v189, sext(v47) dst_sel:DWORD dst_unused:UNUSED_PAD src0_sel:BYTE_0
	v_cvt_f16_i16_sdwa v47, sext(v47) dst_sel:DWORD dst_unused:UNUSED_PAD src0_sel:BYTE_1
	v_pack_b32_f16 v47, v189, v47
	v_pk_mul_f16 v188, v188, v211 op_sel_hi:[1,0]
	v_pk_mul_f16 v47, v211, v47 op_sel_hi:[0,1]
	v_pk_fma_f16 v189, v188, v36, v199 op_sel_hi:[1,0,1]
	v_pk_fma_f16 v44, v188, v32, v44 op_sel_hi:[1,0,1]
	;; [unrolled: 1-line block ×4, first 2 shown]
	v_lshrrev_b32_e32 v47, 16, v208
	v_cvt_f16_i16_sdwa v188, sext(v208) dst_sel:DWORD dst_unused:UNUSED_PAD src0_sel:BYTE_0
	v_pack_b32_f16 v188, v188, v190
	v_cvt_f16_i16_sdwa v190, sext(v47) dst_sel:DWORD dst_unused:UNUSED_PAD src0_sel:BYTE_0
	v_cvt_f16_i16_sdwa v47, sext(v47) dst_sel:DWORD dst_unused:UNUSED_PAD src0_sel:BYTE_1
	v_pack_b32_f16 v47, v190, v47
	v_pk_mul_f16 v188, v188, v209 op_sel_hi:[1,0]
	v_pk_mul_f16 v47, v209, v47 op_sel_hi:[0,1]
	buffer_store_dword v185, off, s[0:3], 0
	buffer_store_dword v46, off, s[0:3], 0 offset:16
	buffer_store_dword v187, off, s[0:3], 0 offset:4
	;; [unrolled: 1-line block ×3, first 2 shown]
	v_pk_fma_f16 v185, v188, v36, v185 op_sel:[0,1,0]
	v_pk_fma_f16 v46, v188, v32, v46 op_sel:[0,1,0]
	;; [unrolled: 1-line block ×4, first 2 shown]
	v_lshrrev_b32_e32 v47, 16, v206
	v_cvt_f16_i16_sdwa v188, sext(v206) dst_sel:DWORD dst_unused:UNUSED_PAD src0_sel:BYTE_0
	v_cvt_f16_i16_sdwa v190, sext(v206) dst_sel:DWORD dst_unused:UNUSED_PAD src0_sel:BYTE_1
	v_pack_b32_f16 v188, v188, v190
	v_cvt_f16_i16_sdwa v190, sext(v47) dst_sel:DWORD dst_unused:UNUSED_PAD src0_sel:BYTE_0
	v_cvt_f16_i16_sdwa v47, sext(v47) dst_sel:DWORD dst_unused:UNUSED_PAD src0_sel:BYTE_1
	v_pack_b32_f16 v47, v190, v47
	v_pk_mul_f16 v188, v188, v207 op_sel_hi:[1,0]
	v_pk_mul_f16 v47, v207, v47 op_sel_hi:[0,1]
	buffer_store_dword v189, off, s[0:3], 0 offset:8
	buffer_store_dword v44, off, s[0:3], 0 offset:24
	;; [unrolled: 1-line block ×4, first 2 shown]
	v_pk_fma_f16 v189, v188, v36, v189 op_sel:[0,1,0]
	v_pk_fma_f16 v44, v188, v32, v44 op_sel:[0,1,0]
	;; [unrolled: 1-line block ×4, first 2 shown]
	s_waitcnt vmcnt(24)
	v_lshrrev_b32_e32 v43, 16, v200
	v_cvt_f16_i16_sdwa v45, sext(v200) dst_sel:DWORD dst_unused:UNUSED_PAD src0_sel:BYTE_0
	v_cvt_f16_i16_sdwa v47, sext(v200) dst_sel:DWORD dst_unused:UNUSED_PAD src0_sel:BYTE_1
	v_pack_b32_f16 v45, v45, v47
	v_cvt_f16_i16_sdwa v47, sext(v43) dst_sel:DWORD dst_unused:UNUSED_PAD src0_sel:BYTE_0
	v_cvt_f16_i16_sdwa v43, sext(v43) dst_sel:DWORD dst_unused:UNUSED_PAD src0_sel:BYTE_1
	v_pack_b32_f16 v43, v47, v43
	buffer_store_dword v42, off, s[0:3], 0 offset:20
	buffer_store_dword v36, off, s[0:3], 0 offset:12
	;; [unrolled: 1-line block ×4, first 2 shown]
	s_waitcnt vmcnt(16)
	v_pk_mul_f16 v45, v45, v41 op_sel_hi:[1,0]
	v_pk_mul_f16 v41, v41, v43 op_sel_hi:[0,1]
	v_pk_fma_f16 v197, v41, v37, v187 op_sel_hi:[1,0,1]
	v_pk_fma_f16 v198, v41, v33, v42 op_sel_hi:[1,0,1]
	v_lshrrev_b32_e32 v41, 16, v186
	v_cvt_f16_i16_sdwa v42, sext(v186) dst_sel:DWORD dst_unused:UNUSED_PAD src0_sel:BYTE_0
	v_cvt_f16_i16_sdwa v43, sext(v186) dst_sel:DWORD dst_unused:UNUSED_PAD src0_sel:BYTE_1
	v_pack_b32_f16 v42, v42, v43
	v_cvt_f16_i16_sdwa v43, sext(v41) dst_sel:DWORD dst_unused:UNUSED_PAD src0_sel:BYTE_0
	v_cvt_f16_i16_sdwa v41, sext(v41) dst_sel:DWORD dst_unused:UNUSED_PAD src0_sel:BYTE_1
	v_pack_b32_f16 v41, v43, v41
	v_pk_mul_f16 v42, v42, v40 op_sel_hi:[1,0]
	v_pk_mul_f16 v40, v40, v41 op_sel_hi:[0,1]
	v_pk_fma_f16 v36, v40, v37, v36 op_sel_hi:[1,0,1]
	v_pk_fma_f16 v32, v40, v33, v32 op_sel_hi:[1,0,1]
	v_add_co_u32_e32 v40, vcc, s8, v130
	v_addc_co_u32_e32 v41, vcc, v184, v51, vcc
	v_pk_fma_f16 v199, v42, v37, v189 op_sel_hi:[1,0,1]
	v_pk_fma_f16 v200, v42, v33, v44 op_sel_hi:[1,0,1]
	v_mad_u64_u32 v[42:43], s[16:17], v104, 34, v[40:41]
	v_add_co_u32_e32 v44, vcc, v42, v106
	buffer_store_dword v185, off, s[0:3], 0
	v_pk_fma_f16 v185, v45, v37, v185 op_sel_hi:[1,0,1]
	v_pk_fma_f16 v196, v45, v33, v46 op_sel_hi:[1,0,1]
	v_addc_co_u32_e32 v45, vcc, 0, v43, vcc
	v_mad_u64_u32 v[40:41], s[16:17], v88, 34, v[40:41]
	global_load_dword v201, v[44:45], off offset:2
	v_add_co_u32_e32 v44, vcc, v40, v90
	v_addc_co_u32_e32 v45, vcc, 0, v41, vcc
	buffer_store_dword v46, off, s[0:3], 0 offset:16
	v_add_co_u32_e32 v46, vcc, s8, v132
	v_addc_co_u32_e32 v47, vcc, v184, v85, vcc
	buffer_store_dword v187, off, s[0:3], 0 offset:4
	v_mad_u64_u32 v[186:187], s[16:17], v104, 34, v[46:47]
	v_add_co_u32_e32 v188, vcc, v186, v106
	buffer_store_dword v189, off, s[0:3], 0 offset:8
	v_addc_co_u32_e32 v189, vcc, 0, v187, vcc
	v_mad_u64_u32 v[46:47], s[16:17], v88, 34, v[46:47]
	v_add_co_u32_e32 v190, vcc, v46, v90
	buffer_store_dword v185, off, s[0:3], 0
	buffer_store_dword v196, off, s[0:3], 0 offset:16
	buffer_store_dword v197, off, s[0:3], 0 offset:4
	;; [unrolled: 1-line block ×6, first 2 shown]
	v_addc_co_u32_e32 v191, vcc, 0, v47, vcc
	global_load_dword v202, v[190:191], off offset:2
	global_load_ushort v203, v[46:47], off
	global_load_dword v204, v[188:189], off offset:2
	global_load_ushort v205, v[186:187], off
	;; [unrolled: 2-line block ×3, first 2 shown]
	global_load_ushort v208, v[42:43], off
	v_lshrrev_b32_e32 v40, 16, v192
	v_cvt_f16_i16_sdwa v41, sext(v192) dst_sel:DWORD dst_unused:UNUSED_PAD src0_sel:BYTE_0
	v_cvt_f16_i16_sdwa v42, sext(v192) dst_sel:DWORD dst_unused:UNUSED_PAD src0_sel:BYTE_1
	v_pack_b32_f16 v41, v41, v42
	v_cvt_f16_i16_sdwa v42, sext(v40) dst_sel:DWORD dst_unused:UNUSED_PAD src0_sel:BYTE_0
	v_cvt_f16_i16_sdwa v40, sext(v40) dst_sel:DWORD dst_unused:UNUSED_PAD src0_sel:BYTE_1
	v_pk_mul_f16 v41, v41, v193 op_sel_hi:[1,0]
	v_pack_b32_f16 v40, v42, v40
	v_pk_mul_f16 v40, v193, v40 op_sel_hi:[0,1]
	v_pk_fma_f16 v185, v41, v37, v185 op_sel:[0,1,0]
	v_pk_fma_f16 v192, v41, v33, v196 op_sel:[0,1,0]
	v_cvt_f16_i16_sdwa v41, sext(v194) dst_sel:DWORD dst_unused:UNUSED_PAD src0_sel:BYTE_0
	v_cvt_f16_i16_sdwa v42, sext(v194) dst_sel:DWORD dst_unused:UNUSED_PAD src0_sel:BYTE_1
	v_pk_fma_f16 v193, v40, v37, v197 op_sel:[0,1,0]
	v_pk_fma_f16 v196, v40, v33, v198 op_sel:[0,1,0]
	v_lshrrev_b32_e32 v40, 16, v194
	v_pack_b32_f16 v41, v41, v42
	v_pk_mul_f16 v194, v41, v195 op_sel_hi:[1,0]
	v_cvt_f16_i16_sdwa v41, sext(v40) dst_sel:DWORD dst_unused:UNUSED_PAD src0_sel:BYTE_0
	v_cvt_f16_i16_sdwa v40, sext(v40) dst_sel:DWORD dst_unused:UNUSED_PAD src0_sel:BYTE_1
	v_pack_b32_f16 v40, v41, v40
	v_pk_mul_f16 v195, v195, v40 op_sel_hi:[0,1]
	v_add_co_u32_e32 v40, vcc, s8, v134
	v_addc_co_u32_e32 v41, vcc, v184, v87, vcc
	v_mad_u64_u32 v[42:43], s[16:17], v104, 34, v[40:41]
	v_add_co_u32_e32 v44, vcc, v42, v106
	v_addc_co_u32_e32 v45, vcc, 0, v43, vcc
	v_mad_u64_u32 v[40:41], s[16:17], v88, 34, v[40:41]
	global_load_dword v198, v[44:45], off offset:2
	v_add_co_u32_e32 v44, vcc, v40, v90
	v_addc_co_u32_e32 v45, vcc, 0, v41, vcc
	v_add_co_u32_e32 v46, vcc, s8, v136
	v_addc_co_u32_e32 v47, vcc, v184, v89, vcc
	v_mad_u64_u32 v[186:187], s[16:17], v104, 34, v[46:47]
	v_add_co_u32_e32 v188, vcc, v186, v106
	v_addc_co_u32_e32 v189, vcc, 0, v187, vcc
	v_mad_u64_u32 v[46:47], s[16:17], v88, 34, v[46:47]
	v_add_co_u32_e32 v190, vcc, v46, v90
	buffer_store_dword v32, off, s[0:3], 0 offset:28
	buffer_store_dword v185, off, s[0:3], 0
	buffer_store_dword v192, off, s[0:3], 0 offset:16
	buffer_store_dword v193, off, s[0:3], 0 offset:4
	;; [unrolled: 1-line block ×3, first 2 shown]
	v_addc_co_u32_e32 v191, vcc, 0, v47, vcc
	global_load_dword v190, v[190:191], off offset:2
	s_nop 0
	global_load_ushort v191, v[46:47], off
	s_nop 0
	global_load_dword v188, v[188:189], off offset:2
	s_nop 0
	global_load_ushort v189, v[186:187], off
	s_nop 0
	global_load_dword v44, v[44:45], off offset:2
	s_nop 0
	global_load_ushort v40, v[40:41], off
	s_nop 0
	global_load_ushort v41, v[42:43], off
	v_pk_fma_f16 v197, v194, v37, v199 op_sel:[0,1,0]
	v_pk_fma_f16 v36, v195, v37, v36 op_sel:[0,1,0]
	s_waitcnt vmcnt(30)
	v_cvt_f16_i16_sdwa v37, sext(v201) dst_sel:DWORD dst_unused:UNUSED_PAD src0_sel:BYTE_0
	v_cvt_f16_i16_sdwa v43, sext(v201) dst_sel:DWORD dst_unused:UNUSED_PAD src0_sel:BYTE_1
	v_pk_fma_f16 v42, v194, v33, v200 op_sel:[0,1,0]
	v_pk_fma_f16 v32, v195, v33, v32 op_sel:[0,1,0]
	v_lshrrev_b32_e32 v33, 16, v201
	v_pack_b32_f16 v37, v37, v43
	v_cvt_f16_i16_sdwa v43, sext(v33) dst_sel:DWORD dst_unused:UNUSED_PAD src0_sel:BYTE_0
	v_cvt_f16_i16_sdwa v33, sext(v33) dst_sel:DWORD dst_unused:UNUSED_PAD src0_sel:BYTE_1
	v_pack_b32_f16 v33, v43, v33
	buffer_store_dword v42, off, s[0:3], 0 offset:24
	buffer_store_dword v36, off, s[0:3], 0 offset:12
	;; [unrolled: 1-line block ×3, first 2 shown]
	s_waitcnt vmcnt(20)
	v_cvt_f16_i16_sdwa v186, sext(v204) dst_sel:DWORD dst_unused:UNUSED_PAD src0_sel:BYTE_1
	buffer_store_dword v197, off, s[0:3], 0 offset:8
	s_waitcnt vmcnt(19)
	v_lshrrev_b32_e32 v46, 16, v206
	v_cvt_f16_i16_sdwa v47, sext(v206) dst_sel:DWORD dst_unused:UNUSED_PAD src0_sel:BYTE_0
	s_waitcnt vmcnt(17)
	v_pk_mul_f16 v37, v37, v208 op_sel_hi:[1,0]
	v_pk_fma_f16 v43, v37, v38, v185 op_sel_hi:[1,0,1]
	v_cvt_f16_i16_sdwa v185, sext(v206) dst_sel:DWORD dst_unused:UNUSED_PAD src0_sel:BYTE_1
	v_pack_b32_f16 v47, v47, v185
	v_cvt_f16_i16_sdwa v185, sext(v46) dst_sel:DWORD dst_unused:UNUSED_PAD src0_sel:BYTE_0
	v_cvt_f16_i16_sdwa v46, sext(v46) dst_sel:DWORD dst_unused:UNUSED_PAD src0_sel:BYTE_1
	v_pack_b32_f16 v46, v185, v46
	v_pk_mul_f16 v47, v47, v207 op_sel_hi:[1,0]
	v_pk_mul_f16 v46, v207, v46 op_sel_hi:[0,1]
	v_pk_fma_f16 v185, v47, v38, v197 op_sel_hi:[1,0,1]
	v_pk_fma_f16 v42, v47, v34, v42 op_sel_hi:[1,0,1]
	;; [unrolled: 1-line block ×4, first 2 shown]
	v_lshrrev_b32_e32 v46, 16, v204
	v_cvt_f16_i16_sdwa v47, sext(v204) dst_sel:DWORD dst_unused:UNUSED_PAD src0_sel:BYTE_0
	v_pack_b32_f16 v47, v47, v186
	v_cvt_f16_i16_sdwa v186, sext(v46) dst_sel:DWORD dst_unused:UNUSED_PAD src0_sel:BYTE_0
	v_cvt_f16_i16_sdwa v46, sext(v46) dst_sel:DWORD dst_unused:UNUSED_PAD src0_sel:BYTE_1
	v_pk_mul_f16 v33, v208, v33 op_sel_hi:[0,1]
	v_pack_b32_f16 v46, v186, v46
	v_pk_fma_f16 v37, v37, v34, v192 op_sel_hi:[1,0,1]
	v_pk_fma_f16 v45, v33, v38, v193 op_sel_hi:[1,0,1]
	;; [unrolled: 1-line block ×3, first 2 shown]
	v_pk_mul_f16 v47, v47, v205 op_sel_hi:[1,0]
	v_pk_mul_f16 v46, v205, v46 op_sel_hi:[0,1]
	buffer_store_dword v43, off, s[0:3], 0
	buffer_store_dword v37, off, s[0:3], 0 offset:16
	buffer_store_dword v45, off, s[0:3], 0 offset:4
	buffer_store_dword v33, off, s[0:3], 0 offset:20
	v_pk_fma_f16 v43, v47, v38, v43 op_sel:[0,1,0]
	v_pk_fma_f16 v37, v47, v34, v37 op_sel:[0,1,0]
	;; [unrolled: 1-line block ×4, first 2 shown]
	v_lshrrev_b32_e32 v46, 16, v202
	v_cvt_f16_i16_sdwa v47, sext(v202) dst_sel:DWORD dst_unused:UNUSED_PAD src0_sel:BYTE_0
	v_cvt_f16_i16_sdwa v186, sext(v202) dst_sel:DWORD dst_unused:UNUSED_PAD src0_sel:BYTE_1
	v_pack_b32_f16 v47, v47, v186
	v_cvt_f16_i16_sdwa v186, sext(v46) dst_sel:DWORD dst_unused:UNUSED_PAD src0_sel:BYTE_0
	v_cvt_f16_i16_sdwa v46, sext(v46) dst_sel:DWORD dst_unused:UNUSED_PAD src0_sel:BYTE_1
	v_pack_b32_f16 v46, v186, v46
	v_pk_mul_f16 v47, v47, v203 op_sel_hi:[1,0]
	v_pk_mul_f16 v46, v203, v46 op_sel_hi:[0,1]
	buffer_store_dword v185, off, s[0:3], 0 offset:8
	buffer_store_dword v42, off, s[0:3], 0 offset:24
	;; [unrolled: 1-line block ×4, first 2 shown]
	v_pk_fma_f16 v185, v47, v38, v185 op_sel:[0,1,0]
	v_pk_fma_f16 v42, v47, v34, v42 op_sel:[0,1,0]
	;; [unrolled: 1-line block ×4, first 2 shown]
	s_waitcnt vmcnt(24)
	v_lshrrev_b32_e32 v34, 16, v198
	v_cvt_f16_i16_sdwa v38, sext(v198) dst_sel:DWORD dst_unused:UNUSED_PAD src0_sel:BYTE_0
	v_cvt_f16_i16_sdwa v46, sext(v198) dst_sel:DWORD dst_unused:UNUSED_PAD src0_sel:BYTE_1
	v_pack_b32_f16 v38, v38, v46
	v_cvt_f16_i16_sdwa v46, sext(v34) dst_sel:DWORD dst_unused:UNUSED_PAD src0_sel:BYTE_0
	v_cvt_f16_i16_sdwa v34, sext(v34) dst_sel:DWORD dst_unused:UNUSED_PAD src0_sel:BYTE_1
	v_pack_b32_f16 v34, v46, v34
	buffer_store_dword v37, off, s[0:3], 0 offset:16
	buffer_store_dword v33, off, s[0:3], 0 offset:20
	;; [unrolled: 1-line block ×4, first 2 shown]
	s_waitcnt vmcnt(16)
	v_pk_mul_f16 v38, v38, v41 op_sel_hi:[1,0]
	v_pk_mul_f16 v34, v41, v34 op_sel_hi:[0,1]
	v_pk_fma_f16 v192, v38, v39, v43 op_sel_hi:[1,0,1]
	v_pk_fma_f16 v38, v38, v35, v37 op_sel_hi:[1,0,1]
	;; [unrolled: 1-line block ×4, first 2 shown]
	v_lshrrev_b32_e32 v33, 16, v44
	v_cvt_f16_i16_sdwa v37, sext(v44) dst_sel:DWORD dst_unused:UNUSED_PAD src0_sel:BYTE_0
	v_cvt_f16_i16_sdwa v41, sext(v44) dst_sel:DWORD dst_unused:UNUSED_PAD src0_sel:BYTE_1
	v_pack_b32_f16 v37, v37, v41
	v_cvt_f16_i16_sdwa v41, sext(v33) dst_sel:DWORD dst_unused:UNUSED_PAD src0_sel:BYTE_0
	v_cvt_f16_i16_sdwa v33, sext(v33) dst_sel:DWORD dst_unused:UNUSED_PAD src0_sel:BYTE_1
	v_pack_b32_f16 v33, v41, v33
	v_pk_mul_f16 v33, v40, v33 op_sel_hi:[0,1]
	v_pk_fma_f16 v196, v33, v35, v32 op_sel_hi:[1,0,1]
	v_add_co_u32_e32 v32, vcc, s8, v138
	v_pk_mul_f16 v37, v37, v40 op_sel_hi:[1,0]
	v_pk_fma_f16 v195, v33, v39, v36 op_sel_hi:[1,0,1]
	v_addc_co_u32_e32 v33, vcc, v184, v91, vcc
	buffer_store_dword v36, off, s[0:3], 0 offset:12
	v_pk_fma_f16 v185, v37, v39, v185 op_sel_hi:[1,0,1]
	v_pk_fma_f16 v194, v37, v35, v42 op_sel_hi:[1,0,1]
	v_mad_u64_u32 v[36:37], s[16:17], v104, 34, v[32:33]
	v_add_co_u32_e32 v40, vcc, v36, v106
	v_addc_co_u32_e32 v41, vcc, 0, v37, vcc
	v_mad_u64_u32 v[32:33], s[16:17], v88, 34, v[32:33]
	global_load_dword v197, v[40:41], off offset:2
	v_add_co_u32_e32 v40, vcc, v32, v90
	v_addc_co_u32_e32 v41, vcc, 0, v33, vcc
	buffer_store_dword v42, off, s[0:3], 0 offset:24
	v_add_co_u32_e32 v42, vcc, s8, v140
	buffer_store_dword v43, off, s[0:3], 0
	v_addc_co_u32_e32 v43, vcc, v184, v97, vcc
	buffer_store_dword v45, off, s[0:3], 0 offset:4
	v_mad_u64_u32 v[44:45], s[16:17], v104, 34, v[42:43]
	v_add_co_u32_e32 v46, vcc, v44, v106
	v_addc_co_u32_e32 v47, vcc, 0, v45, vcc
	v_mad_u64_u32 v[42:43], s[16:17], v88, 34, v[42:43]
	v_add_co_u32_e32 v186, vcc, v42, v90
	buffer_store_dword v192, off, s[0:3], 0
	buffer_store_dword v38, off, s[0:3], 0 offset:16
	buffer_store_dword v193, off, s[0:3], 0 offset:4
	;; [unrolled: 1-line block ×7, first 2 shown]
	v_addc_co_u32_e32 v187, vcc, 0, v43, vcc
	global_load_dword v186, v[186:187], off offset:2
	s_nop 0
	global_load_ushort v187, v[42:43], off
	global_load_dword v198, v[46:47], off offset:2
	global_load_ushort v199, v[44:45], off
	global_load_dword v200, v[40:41], off offset:2
	global_load_ushort v201, v[32:33], off
	global_load_ushort v202, v[36:37], off
	v_lshrrev_b32_e32 v32, 16, v188
	v_cvt_f16_i16_sdwa v33, sext(v188) dst_sel:DWORD dst_unused:UNUSED_PAD src0_sel:BYTE_0
	v_cvt_f16_i16_sdwa v36, sext(v188) dst_sel:DWORD dst_unused:UNUSED_PAD src0_sel:BYTE_1
	v_pack_b32_f16 v33, v33, v36
	v_cvt_f16_i16_sdwa v36, sext(v32) dst_sel:DWORD dst_unused:UNUSED_PAD src0_sel:BYTE_0
	v_cvt_f16_i16_sdwa v32, sext(v32) dst_sel:DWORD dst_unused:UNUSED_PAD src0_sel:BYTE_1
	v_pack_b32_f16 v32, v36, v32
	v_pk_mul_f16 v33, v33, v189 op_sel_hi:[1,0]
	v_pk_mul_f16 v32, v189, v32 op_sel_hi:[0,1]
	v_pk_fma_f16 v188, v33, v39, v192 op_sel:[0,1,0]
	v_pk_fma_f16 v189, v33, v35, v38 op_sel:[0,1,0]
	;; [unrolled: 1-line block ×4, first 2 shown]
	v_lshrrev_b32_e32 v32, 16, v190
	v_cvt_f16_i16_sdwa v33, sext(v190) dst_sel:DWORD dst_unused:UNUSED_PAD src0_sel:BYTE_0
	v_cvt_f16_i16_sdwa v34, sext(v190) dst_sel:DWORD dst_unused:UNUSED_PAD src0_sel:BYTE_1
	v_pack_b32_f16 v33, v33, v34
	v_cvt_f16_i16_sdwa v34, sext(v32) dst_sel:DWORD dst_unused:UNUSED_PAD src0_sel:BYTE_0
	v_cvt_f16_i16_sdwa v32, sext(v32) dst_sel:DWORD dst_unused:UNUSED_PAD src0_sel:BYTE_1
	v_pack_b32_f16 v32, v34, v32
	v_pk_mul_f16 v33, v33, v191 op_sel_hi:[1,0]
	v_pk_mul_f16 v34, v191, v32 op_sel_hi:[0,1]
	v_add_co_u32_e32 v32, vcc, s8, v142
	v_pk_fma_f16 v185, v33, v39, v185 op_sel:[0,1,0]
	v_pk_fma_f16 v190, v33, v35, v194 op_sel:[0,1,0]
	v_addc_co_u32_e32 v33, vcc, v184, v99, vcc
	v_mad_u64_u32 v[36:37], s[16:17], v104, 34, v[32:33]
	v_add_co_u32_e32 v38, vcc, v36, v106
	v_pk_fma_f16 v191, v34, v39, v195 op_sel:[0,1,0]
	v_addc_co_u32_e32 v39, vcc, 0, v37, vcc
	v_mad_u64_u32 v[32:33], s[16:17], v88, 34, v[32:33]
	global_load_dword v194, v[38:39], off offset:2
	v_add_co_u32_e32 v38, vcc, v32, v90
	v_addc_co_u32_e32 v39, vcc, 0, v33, vcc
	v_add_co_u32_e32 v40, vcc, s8, v144
	v_addc_co_u32_e32 v41, vcc, v184, v101, vcc
	v_mad_u64_u32 v[42:43], s[16:17], v104, 34, v[40:41]
	v_add_co_u32_e32 v44, vcc, v42, v106
	v_addc_co_u32_e32 v45, vcc, 0, v43, vcc
	v_mad_u64_u32 v[40:41], s[16:17], v88, 34, v[40:41]
	v_add_co_u32_e32 v46, vcc, v40, v90
	buffer_store_dword v188, off, s[0:3], 0
	buffer_store_dword v189, off, s[0:3], 0 offset:16
	buffer_store_dword v192, off, s[0:3], 0 offset:4
	;; [unrolled: 1-line block ×5, first 2 shown]
	v_addc_co_u32_e32 v47, vcc, 0, v41, vcc
	global_load_dword v203, v[46:47], off offset:2
	global_load_ushort v204, v[40:41], off
	global_load_dword v205, v[44:45], off offset:2
	global_load_ushort v206, v[42:43], off
	;; [unrolled: 2-line block ×3, first 2 shown]
	global_load_ushort v208, v[36:37], off
	v_pk_fma_f16 v196, v34, v35, v196 op_sel:[0,1,0]
	ds_read_b128 v[40:43], v182 offset:288
	ds_read_b128 v[36:39], v182 offset:304
	s_waitcnt vmcnt(32)
	v_cvt_f16_i16_sdwa v33, sext(v197) dst_sel:DWORD dst_unused:UNUSED_PAD src0_sel:BYTE_0
	v_cvt_f16_i16_sdwa v34, sext(v197) dst_sel:DWORD dst_unused:UNUSED_PAD src0_sel:BYTE_1
	ds_read_b128 v[44:47], v182 offset:32
	v_lshrrev_b32_e32 v32, 16, v197
	v_pack_b32_f16 v33, v33, v34
	buffer_store_dword v191, off, s[0:3], 0 offset:12
	buffer_store_dword v196, off, s[0:3], 0 offset:28
	s_waitcnt vmcnt(16)
	v_pk_mul_f16 v197, v33, v202 op_sel_hi:[1,0]
	v_cvt_f16_i16_sdwa v33, sext(v32) dst_sel:DWORD dst_unused:UNUSED_PAD src0_sel:BYTE_0
	v_cvt_f16_i16_sdwa v32, sext(v32) dst_sel:DWORD dst_unused:UNUSED_PAD src0_sel:BYTE_1
	v_pack_b32_f16 v32, v33, v32
	v_pk_mul_f16 v202, v202, v32 op_sel_hi:[0,1]
	ds_read_b128 v[32:35], v182 offset:48
	s_waitcnt lgkmcnt(1)
	v_pk_fma_f16 v188, v197, v44, v188 op_sel_hi:[1,0,1]
	v_pk_fma_f16 v189, v197, v40, v189 op_sel_hi:[1,0,1]
	;; [unrolled: 1-line block ×4, first 2 shown]
	v_lshrrev_b32_e32 v197, 16, v200
	v_cvt_f16_i16_sdwa v202, sext(v200) dst_sel:DWORD dst_unused:UNUSED_PAD src0_sel:BYTE_0
	v_cvt_f16_i16_sdwa v200, sext(v200) dst_sel:DWORD dst_unused:UNUSED_PAD src0_sel:BYTE_1
	v_pack_b32_f16 v200, v202, v200
	v_cvt_f16_i16_sdwa v202, sext(v197) dst_sel:DWORD dst_unused:UNUSED_PAD src0_sel:BYTE_0
	v_cvt_f16_i16_sdwa v197, sext(v197) dst_sel:DWORD dst_unused:UNUSED_PAD src0_sel:BYTE_1
	v_pack_b32_f16 v197, v202, v197
	v_pk_mul_f16 v200, v200, v201 op_sel_hi:[1,0]
	v_pk_mul_f16 v197, v201, v197 op_sel_hi:[0,1]
	v_pk_fma_f16 v185, v200, v44, v185 op_sel_hi:[1,0,1]
	v_pk_fma_f16 v190, v200, v40, v190 op_sel_hi:[1,0,1]
	;; [unrolled: 1-line block ×4, first 2 shown]
	v_lshrrev_b32_e32 v197, 16, v198
	v_cvt_f16_i16_sdwa v200, sext(v198) dst_sel:DWORD dst_unused:UNUSED_PAD src0_sel:BYTE_0
	v_cvt_f16_i16_sdwa v198, sext(v198) dst_sel:DWORD dst_unused:UNUSED_PAD src0_sel:BYTE_1
	v_pack_b32_f16 v198, v200, v198
	v_cvt_f16_i16_sdwa v200, sext(v197) dst_sel:DWORD dst_unused:UNUSED_PAD src0_sel:BYTE_0
	v_cvt_f16_i16_sdwa v197, sext(v197) dst_sel:DWORD dst_unused:UNUSED_PAD src0_sel:BYTE_1
	v_pack_b32_f16 v197, v200, v197
	v_pk_mul_f16 v198, v198, v199 op_sel_hi:[1,0]
	v_pk_mul_f16 v197, v199, v197 op_sel_hi:[0,1]
	buffer_store_dword v188, off, s[0:3], 0
	buffer_store_dword v189, off, s[0:3], 0 offset:16
	buffer_store_dword v192, off, s[0:3], 0 offset:4
	;; [unrolled: 1-line block ×3, first 2 shown]
	v_pk_fma_f16 v188, v198, v44, v188 op_sel:[0,1,0]
	v_pk_fma_f16 v189, v198, v40, v189 op_sel:[0,1,0]
	;; [unrolled: 1-line block ×4, first 2 shown]
	v_lshrrev_b32_e32 v197, 16, v186
	v_cvt_f16_i16_sdwa v198, sext(v186) dst_sel:DWORD dst_unused:UNUSED_PAD src0_sel:BYTE_0
	v_cvt_f16_i16_sdwa v186, sext(v186) dst_sel:DWORD dst_unused:UNUSED_PAD src0_sel:BYTE_1
	v_pack_b32_f16 v186, v198, v186
	v_cvt_f16_i16_sdwa v198, sext(v197) dst_sel:DWORD dst_unused:UNUSED_PAD src0_sel:BYTE_0
	v_cvt_f16_i16_sdwa v197, sext(v197) dst_sel:DWORD dst_unused:UNUSED_PAD src0_sel:BYTE_1
	v_pack_b32_f16 v197, v198, v197
	v_pk_mul_f16 v186, v186, v187 op_sel_hi:[1,0]
	v_pk_mul_f16 v187, v187, v197 op_sel_hi:[0,1]
	buffer_store_dword v185, off, s[0:3], 0 offset:8
	buffer_store_dword v190, off, s[0:3], 0 offset:24
	;; [unrolled: 1-line block ×3, first 2 shown]
	v_pk_fma_f16 v185, v186, v44, v185 op_sel:[0,1,0]
	v_pk_fma_f16 v186, v186, v40, v190 op_sel:[0,1,0]
	v_pk_fma_f16 v44, v187, v44, v191 op_sel:[0,1,0]
	v_pk_fma_f16 v40, v187, v40, v196 op_sel:[0,1,0]
	s_waitcnt vmcnt(22)
	v_lshrrev_b32_e32 v187, 16, v194
	v_cvt_f16_i16_sdwa v190, sext(v194) dst_sel:DWORD dst_unused:UNUSED_PAD src0_sel:BYTE_0
	v_cvt_f16_i16_sdwa v191, sext(v194) dst_sel:DWORD dst_unused:UNUSED_PAD src0_sel:BYTE_1
	v_pack_b32_f16 v190, v190, v191
	v_cvt_f16_i16_sdwa v191, sext(v187) dst_sel:DWORD dst_unused:UNUSED_PAD src0_sel:BYTE_0
	v_cvt_f16_i16_sdwa v187, sext(v187) dst_sel:DWORD dst_unused:UNUSED_PAD src0_sel:BYTE_1
	v_pack_b32_f16 v187, v191, v187
	buffer_store_dword v188, off, s[0:3], 0
	buffer_store_dword v189, off, s[0:3], 0 offset:16
	s_waitcnt vmcnt(11)
	v_pk_mul_f16 v190, v190, v208 op_sel_hi:[1,0]
	v_pk_mul_f16 v187, v208, v187 op_sel_hi:[0,1]
	v_pk_fma_f16 v200, v190, v45, v188 op_sel_hi:[1,0,1]
	v_pk_fma_f16 v201, v190, v41, v189 op_sel_hi:[1,0,1]
	;; [unrolled: 1-line block ×4, first 2 shown]
	v_lshrrev_b32_e32 v187, 16, v195
	v_cvt_f16_i16_sdwa v188, sext(v195) dst_sel:DWORD dst_unused:UNUSED_PAD src0_sel:BYTE_0
	v_cvt_f16_i16_sdwa v189, sext(v195) dst_sel:DWORD dst_unused:UNUSED_PAD src0_sel:BYTE_1
	v_pack_b32_f16 v188, v188, v189
	v_cvt_f16_i16_sdwa v189, sext(v187) dst_sel:DWORD dst_unused:UNUSED_PAD src0_sel:BYTE_0
	v_cvt_f16_i16_sdwa v187, sext(v187) dst_sel:DWORD dst_unused:UNUSED_PAD src0_sel:BYTE_1
	v_pk_mul_f16 v188, v188, v207 op_sel_hi:[1,0]
	v_pack_b32_f16 v187, v189, v187
	buffer_store_dword v186, off, s[0:3], 0 offset:24
	v_pk_mul_f16 v187, v207, v187 op_sel_hi:[0,1]
	v_pk_fma_f16 v207, v188, v41, v186 op_sel_hi:[1,0,1]
	v_add_co_u32_e32 v186, vcc, s8, v146
	buffer_store_dword v196, off, s[0:3], 0 offset:28
	buffer_store_dword v44, off, s[0:3], 0 offset:12
	;; [unrolled: 1-line block ×3, first 2 shown]
	v_pk_fma_f16 v44, v187, v45, v44 op_sel_hi:[1,0,1]
	v_pk_fma_f16 v40, v187, v41, v40 op_sel_hi:[1,0,1]
	v_addc_co_u32_e32 v187, vcc, v184, v103, vcc
	buffer_store_dword v185, off, s[0:3], 0 offset:8
	v_pk_fma_f16 v185, v188, v45, v185 op_sel_hi:[1,0,1]
	v_mad_u64_u32 v[188:189], s[16:17], v104, 34, v[186:187]
	v_add_co_u32_e32 v190, vcc, v188, v106
	v_addc_co_u32_e32 v191, vcc, 0, v189, vcc
	v_mad_u64_u32 v[186:187], s[16:17], v88, 34, v[186:187]
	global_load_dword v209, v[190:191], off offset:2
	v_add_co_u32_e32 v190, vcc, v186, v90
	v_addc_co_u32_e32 v191, vcc, 0, v187, vcc
	buffer_store_dword v192, off, s[0:3], 0 offset:4
	v_add_co_u32_e32 v192, vcc, s8, v148
	buffer_store_dword v193, off, s[0:3], 0 offset:20
	v_addc_co_u32_e32 v193, vcc, v184, v105, vcc
	v_mad_u64_u32 v[194:195], s[16:17], v104, 34, v[192:193]
	v_add_co_u32_e32 v196, vcc, v194, v106
	v_addc_co_u32_e32 v197, vcc, 0, v195, vcc
	v_mad_u64_u32 v[192:193], s[16:17], v88, 34, v[192:193]
	v_add_co_u32_e32 v198, vcc, v192, v90
	buffer_store_dword v200, off, s[0:3], 0
	buffer_store_dword v201, off, s[0:3], 0 offset:16
	buffer_store_dword v202, off, s[0:3], 0 offset:4
	;; [unrolled: 1-line block ×6, first 2 shown]
	v_addc_co_u32_e32 v199, vcc, 0, v193, vcc
	global_load_dword v210, v[198:199], off offset:2
	global_load_ushort v211, v[192:193], off
	global_load_dword v212, v[196:197], off offset:2
	global_load_ushort v213, v[194:195], off
	;; [unrolled: 2-line block ×3, first 2 shown]
	global_load_ushort v216, v[188:189], off
	v_lshrrev_b32_e32 v186, 16, v205
	v_cvt_f16_i16_sdwa v187, sext(v205) dst_sel:DWORD dst_unused:UNUSED_PAD src0_sel:BYTE_0
	v_cvt_f16_i16_sdwa v188, sext(v205) dst_sel:DWORD dst_unused:UNUSED_PAD src0_sel:BYTE_1
	v_pack_b32_f16 v187, v187, v188
	v_cvt_f16_i16_sdwa v188, sext(v186) dst_sel:DWORD dst_unused:UNUSED_PAD src0_sel:BYTE_0
	v_cvt_f16_i16_sdwa v186, sext(v186) dst_sel:DWORD dst_unused:UNUSED_PAD src0_sel:BYTE_1
	v_pk_mul_f16 v187, v187, v206 op_sel_hi:[1,0]
	v_pack_b32_f16 v186, v188, v186
	v_pk_mul_f16 v186, v206, v186 op_sel_hi:[0,1]
	v_pk_fma_f16 v200, v187, v45, v200 op_sel:[0,1,0]
	v_pk_fma_f16 v201, v187, v41, v201 op_sel:[0,1,0]
	v_cvt_f16_i16_sdwa v187, sext(v203) dst_sel:DWORD dst_unused:UNUSED_PAD src0_sel:BYTE_0
	v_cvt_f16_i16_sdwa v188, sext(v203) dst_sel:DWORD dst_unused:UNUSED_PAD src0_sel:BYTE_1
	v_pk_fma_f16 v202, v186, v45, v202 op_sel:[0,1,0]
	v_pk_fma_f16 v205, v186, v41, v208 op_sel:[0,1,0]
	v_lshrrev_b32_e32 v186, 16, v203
	v_pack_b32_f16 v187, v187, v188
	v_pk_mul_f16 v203, v187, v204 op_sel_hi:[1,0]
	v_cvt_f16_i16_sdwa v187, sext(v186) dst_sel:DWORD dst_unused:UNUSED_PAD src0_sel:BYTE_0
	v_cvt_f16_i16_sdwa v186, sext(v186) dst_sel:DWORD dst_unused:UNUSED_PAD src0_sel:BYTE_1
	v_pack_b32_f16 v186, v187, v186
	v_pk_mul_f16 v204, v204, v186 op_sel_hi:[0,1]
	v_add_co_u32_e32 v186, vcc, s8, v150
	v_addc_co_u32_e32 v187, vcc, v184, v107, vcc
	v_mad_u64_u32 v[188:189], s[16:17], v104, 34, v[186:187]
	v_add_co_u32_e32 v190, vcc, v188, v106
	v_addc_co_u32_e32 v191, vcc, 0, v189, vcc
	v_mad_u64_u32 v[186:187], s[16:17], v88, 34, v[186:187]
	global_load_dword v206, v[190:191], off offset:2
	v_add_co_u32_e32 v190, vcc, v186, v90
	v_addc_co_u32_e32 v191, vcc, 0, v187, vcc
	v_add_co_u32_e32 v192, vcc, s8, v152
	v_addc_co_u32_e32 v193, vcc, v184, v109, vcc
	v_mad_u64_u32 v[194:195], s[16:17], v104, 34, v[192:193]
	v_add_co_u32_e32 v196, vcc, v194, v106
	v_addc_co_u32_e32 v197, vcc, 0, v195, vcc
	v_mad_u64_u32 v[192:193], s[16:17], v88, 34, v[192:193]
	v_add_co_u32_e32 v198, vcc, v192, v90
	buffer_store_dword v40, off, s[0:3], 0 offset:28
	buffer_store_dword v200, off, s[0:3], 0
	buffer_store_dword v201, off, s[0:3], 0 offset:16
	buffer_store_dword v202, off, s[0:3], 0 offset:4
	;; [unrolled: 1-line block ×3, first 2 shown]
	v_addc_co_u32_e32 v199, vcc, 0, v193, vcc
	global_load_dword v198, v[198:199], off offset:2
	s_nop 0
	global_load_ushort v199, v[192:193], off
	s_nop 0
	global_load_dword v196, v[196:197], off offset:2
	s_nop 0
	global_load_ushort v197, v[194:195], off
	s_nop 0
	;; [unrolled: 4-line block ×3, first 2 shown]
	global_load_ushort v187, v[188:189], off
	v_pk_fma_f16 v185, v203, v45, v185 op_sel:[0,1,0]
	v_pk_fma_f16 v188, v203, v41, v207 op_sel:[0,1,0]
	;; [unrolled: 1-line block ×4, first 2 shown]
	s_waitcnt vmcnt(29)
	v_lshrrev_b32_e32 v41, 16, v209
	v_cvt_f16_i16_sdwa v45, sext(v209) dst_sel:DWORD dst_unused:UNUSED_PAD src0_sel:BYTE_0
	v_cvt_f16_i16_sdwa v189, sext(v209) dst_sel:DWORD dst_unused:UNUSED_PAD src0_sel:BYTE_1
	buffer_store_dword v185, off, s[0:3], 0 offset:8
	buffer_store_dword v188, off, s[0:3], 0 offset:24
	buffer_store_dword v44, off, s[0:3], 0 offset:12
	buffer_store_dword v40, off, s[0:3], 0 offset:28
	v_pack_b32_f16 v45, v45, v189
	v_cvt_f16_i16_sdwa v189, sext(v41) dst_sel:DWORD dst_unused:UNUSED_PAD src0_sel:BYTE_0
	v_cvt_f16_i16_sdwa v41, sext(v41) dst_sel:DWORD dst_unused:UNUSED_PAD src0_sel:BYTE_1
	v_pack_b32_f16 v41, v189, v41
	s_waitcnt vmcnt(19)
	v_lshrrev_b32_e32 v192, 16, v214
	v_cvt_f16_i16_sdwa v193, sext(v214) dst_sel:DWORD dst_unused:UNUSED_PAD src0_sel:BYTE_0
	v_cvt_f16_i16_sdwa v194, sext(v214) dst_sel:DWORD dst_unused:UNUSED_PAD src0_sel:BYTE_1
	v_pack_b32_f16 v193, v193, v194
	v_cvt_f16_i16_sdwa v194, sext(v192) dst_sel:DWORD dst_unused:UNUSED_PAD src0_sel:BYTE_0
	v_cvt_f16_i16_sdwa v192, sext(v192) dst_sel:DWORD dst_unused:UNUSED_PAD src0_sel:BYTE_1
	v_pack_b32_f16 v192, v194, v192
	s_waitcnt vmcnt(18)
	v_pk_mul_f16 v193, v193, v215 op_sel_hi:[1,0]
	v_pk_mul_f16 v192, v215, v192 op_sel_hi:[0,1]
	v_pk_fma_f16 v185, v193, v46, v185 op_sel_hi:[1,0,1]
	v_pk_fma_f16 v188, v193, v42, v188 op_sel_hi:[1,0,1]
	;; [unrolled: 1-line block ×4, first 2 shown]
	v_lshrrev_b32_e32 v192, 16, v212
	v_cvt_f16_i16_sdwa v193, sext(v212) dst_sel:DWORD dst_unused:UNUSED_PAD src0_sel:BYTE_0
	v_cvt_f16_i16_sdwa v194, sext(v212) dst_sel:DWORD dst_unused:UNUSED_PAD src0_sel:BYTE_1
	v_pack_b32_f16 v193, v193, v194
	v_cvt_f16_i16_sdwa v194, sext(v192) dst_sel:DWORD dst_unused:UNUSED_PAD src0_sel:BYTE_0
	v_cvt_f16_i16_sdwa v192, sext(v192) dst_sel:DWORD dst_unused:UNUSED_PAD src0_sel:BYTE_1
	s_waitcnt vmcnt(17)
	v_pk_mul_f16 v45, v45, v216 op_sel_hi:[1,0]
	v_pk_mul_f16 v41, v216, v41 op_sel_hi:[0,1]
	v_pack_b32_f16 v192, v194, v192
	v_pk_fma_f16 v189, v45, v46, v200 op_sel_hi:[1,0,1]
	v_pk_fma_f16 v45, v45, v42, v201 op_sel_hi:[1,0,1]
	;; [unrolled: 1-line block ×4, first 2 shown]
	v_pk_mul_f16 v193, v193, v213 op_sel_hi:[1,0]
	v_pk_mul_f16 v192, v213, v192 op_sel_hi:[0,1]
	buffer_store_dword v189, off, s[0:3], 0
	buffer_store_dword v45, off, s[0:3], 0 offset:16
	buffer_store_dword v191, off, s[0:3], 0 offset:4
	;; [unrolled: 1-line block ×3, first 2 shown]
	v_pk_fma_f16 v189, v193, v46, v189 op_sel:[0,1,0]
	v_pk_fma_f16 v45, v193, v42, v45 op_sel:[0,1,0]
	;; [unrolled: 1-line block ×4, first 2 shown]
	v_lshrrev_b32_e32 v192, 16, v210
	v_cvt_f16_i16_sdwa v193, sext(v210) dst_sel:DWORD dst_unused:UNUSED_PAD src0_sel:BYTE_0
	v_cvt_f16_i16_sdwa v194, sext(v210) dst_sel:DWORD dst_unused:UNUSED_PAD src0_sel:BYTE_1
	v_pack_b32_f16 v193, v193, v194
	v_cvt_f16_i16_sdwa v194, sext(v192) dst_sel:DWORD dst_unused:UNUSED_PAD src0_sel:BYTE_0
	v_cvt_f16_i16_sdwa v192, sext(v192) dst_sel:DWORD dst_unused:UNUSED_PAD src0_sel:BYTE_1
	v_pack_b32_f16 v192, v194, v192
	v_pk_mul_f16 v193, v193, v211 op_sel_hi:[1,0]
	v_pk_mul_f16 v192, v211, v192 op_sel_hi:[0,1]
	buffer_store_dword v185, off, s[0:3], 0 offset:8
	buffer_store_dword v188, off, s[0:3], 0 offset:24
	;; [unrolled: 1-line block ×4, first 2 shown]
	v_pk_fma_f16 v185, v193, v46, v185 op_sel:[0,1,0]
	v_pk_fma_f16 v188, v193, v42, v188 op_sel:[0,1,0]
	;; [unrolled: 1-line block ×4, first 2 shown]
	s_waitcnt vmcnt(24)
	v_lshrrev_b32_e32 v42, 16, v206
	v_cvt_f16_i16_sdwa v46, sext(v206) dst_sel:DWORD dst_unused:UNUSED_PAD src0_sel:BYTE_0
	v_cvt_f16_i16_sdwa v192, sext(v206) dst_sel:DWORD dst_unused:UNUSED_PAD src0_sel:BYTE_1
	v_pack_b32_f16 v46, v46, v192
	v_cvt_f16_i16_sdwa v192, sext(v42) dst_sel:DWORD dst_unused:UNUSED_PAD src0_sel:BYTE_0
	v_cvt_f16_i16_sdwa v42, sext(v42) dst_sel:DWORD dst_unused:UNUSED_PAD src0_sel:BYTE_1
	v_pack_b32_f16 v42, v192, v42
	buffer_store_dword v45, off, s[0:3], 0 offset:16
	buffer_store_dword v41, off, s[0:3], 0 offset:20
	;; [unrolled: 1-line block ×3, first 2 shown]
	s_waitcnt vmcnt(15)
	v_pk_mul_f16 v46, v46, v187 op_sel_hi:[1,0]
	v_pk_mul_f16 v42, v187, v42 op_sel_hi:[0,1]
	v_pk_fma_f16 v200, v46, v47, v189 op_sel_hi:[1,0,1]
	v_pk_fma_f16 v46, v46, v43, v45 op_sel_hi:[1,0,1]
	;; [unrolled: 1-line block ×4, first 2 shown]
	v_lshrrev_b32_e32 v41, 16, v190
	v_cvt_f16_i16_sdwa v45, sext(v190) dst_sel:DWORD dst_unused:UNUSED_PAD src0_sel:BYTE_0
	v_cvt_f16_i16_sdwa v187, sext(v190) dst_sel:DWORD dst_unused:UNUSED_PAD src0_sel:BYTE_1
	v_pack_b32_f16 v45, v45, v187
	v_cvt_f16_i16_sdwa v187, sext(v41) dst_sel:DWORD dst_unused:UNUSED_PAD src0_sel:BYTE_0
	v_cvt_f16_i16_sdwa v41, sext(v41) dst_sel:DWORD dst_unused:UNUSED_PAD src0_sel:BYTE_1
	v_pack_b32_f16 v41, v187, v41
	v_pk_mul_f16 v41, v186, v41 op_sel_hi:[0,1]
	v_pk_fma_f16 v204, v41, v43, v40 op_sel_hi:[1,0,1]
	v_add_co_u32_e32 v40, vcc, s8, v154
	v_pk_mul_f16 v45, v45, v186 op_sel_hi:[1,0]
	v_pk_fma_f16 v203, v41, v47, v44 op_sel_hi:[1,0,1]
	v_addc_co_u32_e32 v41, vcc, v184, v111, vcc
	buffer_store_dword v185, off, s[0:3], 0 offset:8
	buffer_store_dword v44, off, s[0:3], 0 offset:12
	v_pk_fma_f16 v185, v45, v47, v185 op_sel_hi:[1,0,1]
	v_pk_fma_f16 v202, v45, v43, v188 op_sel_hi:[1,0,1]
	v_mad_u64_u32 v[44:45], s[16:17], v104, 34, v[40:41]
	v_add_co_u32_e32 v186, vcc, v44, v106
	v_addc_co_u32_e32 v187, vcc, 0, v45, vcc
	v_mad_u64_u32 v[40:41], s[16:17], v88, 34, v[40:41]
	global_load_dword v205, v[186:187], off offset:2
	v_add_co_u32_e32 v186, vcc, v40, v90
	v_addc_co_u32_e32 v187, vcc, 0, v41, vcc
	buffer_store_dword v188, off, s[0:3], 0 offset:24
	v_add_co_u32_e32 v188, vcc, s8, v156
	buffer_store_dword v189, off, s[0:3], 0
	v_addc_co_u32_e32 v189, vcc, v184, v113, vcc
	buffer_store_dword v191, off, s[0:3], 0 offset:4
	v_mad_u64_u32 v[190:191], s[16:17], v104, 34, v[188:189]
	v_add_co_u32_e32 v192, vcc, v190, v106
	v_addc_co_u32_e32 v193, vcc, 0, v191, vcc
	v_mad_u64_u32 v[188:189], s[16:17], v88, 34, v[188:189]
	v_add_co_u32_e32 v194, vcc, v188, v90
	buffer_store_dword v200, off, s[0:3], 0
	buffer_store_dword v46, off, s[0:3], 0 offset:16
	buffer_store_dword v201, off, s[0:3], 0 offset:4
	buffer_store_dword v42, off, s[0:3], 0 offset:20
	buffer_store_dword v185, off, s[0:3], 0 offset:8
	buffer_store_dword v202, off, s[0:3], 0 offset:24
	buffer_store_dword v203, off, s[0:3], 0 offset:12
	v_addc_co_u32_e32 v195, vcc, 0, v189, vcc
	global_load_dword v206, v[194:195], off offset:2
	global_load_ushort v207, v[188:189], off
	global_load_dword v208, v[192:193], off offset:2
	global_load_ushort v209, v[190:191], off
	;; [unrolled: 2-line block ×3, first 2 shown]
	global_load_ushort v212, v[44:45], off
	v_lshrrev_b32_e32 v40, 16, v196
	v_cvt_f16_i16_sdwa v41, sext(v196) dst_sel:DWORD dst_unused:UNUSED_PAD src0_sel:BYTE_0
	v_cvt_f16_i16_sdwa v44, sext(v196) dst_sel:DWORD dst_unused:UNUSED_PAD src0_sel:BYTE_1
	v_pack_b32_f16 v41, v41, v44
	v_cvt_f16_i16_sdwa v44, sext(v40) dst_sel:DWORD dst_unused:UNUSED_PAD src0_sel:BYTE_0
	v_cvt_f16_i16_sdwa v40, sext(v40) dst_sel:DWORD dst_unused:UNUSED_PAD src0_sel:BYTE_1
	v_pk_mul_f16 v41, v41, v197 op_sel_hi:[1,0]
	v_pack_b32_f16 v40, v44, v40
	v_pk_mul_f16 v40, v197, v40 op_sel_hi:[0,1]
	v_pk_fma_f16 v196, v41, v47, v200 op_sel:[0,1,0]
	v_pk_fma_f16 v46, v41, v43, v46 op_sel:[0,1,0]
	v_cvt_f16_i16_sdwa v41, sext(v198) dst_sel:DWORD dst_unused:UNUSED_PAD src0_sel:BYTE_0
	v_cvt_f16_i16_sdwa v44, sext(v198) dst_sel:DWORD dst_unused:UNUSED_PAD src0_sel:BYTE_1
	v_pk_fma_f16 v197, v40, v47, v201 op_sel:[0,1,0]
	v_pk_fma_f16 v42, v40, v43, v42 op_sel:[0,1,0]
	v_lshrrev_b32_e32 v40, 16, v198
	v_pack_b32_f16 v41, v41, v44
	v_pk_mul_f16 v198, v41, v199 op_sel_hi:[1,0]
	v_cvt_f16_i16_sdwa v41, sext(v40) dst_sel:DWORD dst_unused:UNUSED_PAD src0_sel:BYTE_0
	v_cvt_f16_i16_sdwa v40, sext(v40) dst_sel:DWORD dst_unused:UNUSED_PAD src0_sel:BYTE_1
	v_pack_b32_f16 v40, v41, v40
	v_pk_mul_f16 v199, v199, v40 op_sel_hi:[0,1]
	v_add_co_u32_e32 v40, vcc, s8, v158
	v_addc_co_u32_e32 v41, vcc, v184, v115, vcc
	v_mad_u64_u32 v[44:45], s[16:17], v104, 34, v[40:41]
	v_add_co_u32_e32 v186, vcc, v44, v106
	v_addc_co_u32_e32 v187, vcc, 0, v45, vcc
	v_mad_u64_u32 v[40:41], s[16:17], v88, 34, v[40:41]
	global_load_dword v200, v[186:187], off offset:2
	v_add_co_u32_e32 v186, vcc, v40, v90
	v_addc_co_u32_e32 v187, vcc, 0, v41, vcc
	v_add_co_u32_e32 v188, vcc, s8, v160
	v_addc_co_u32_e32 v189, vcc, v184, v117, vcc
	v_mad_u64_u32 v[190:191], s[16:17], v104, 34, v[188:189]
	v_add_co_u32_e32 v192, vcc, v190, v106
	v_addc_co_u32_e32 v193, vcc, 0, v191, vcc
	v_mad_u64_u32 v[188:189], s[16:17], v88, 34, v[188:189]
	v_add_co_u32_e32 v194, vcc, v188, v90
	buffer_store_dword v204, off, s[0:3], 0 offset:28
	buffer_store_dword v196, off, s[0:3], 0
	buffer_store_dword v46, off, s[0:3], 0 offset:16
	buffer_store_dword v197, off, s[0:3], 0 offset:4
	;; [unrolled: 1-line block ×3, first 2 shown]
	v_addc_co_u32_e32 v195, vcc, 0, v189, vcc
	global_load_dword v194, v[194:195], off offset:2
	s_nop 0
	global_load_ushort v195, v[188:189], off
	s_nop 0
	global_load_dword v192, v[192:193], off offset:2
	s_nop 0
	global_load_ushort v193, v[190:191], off
	s_nop 0
	;; [unrolled: 4-line block ×3, first 2 shown]
	global_load_ushort v41, v[44:45], off
	v_pk_fma_f16 v185, v198, v47, v185 op_sel:[0,1,0]
	v_pk_fma_f16 v45, v199, v47, v203 op_sel:[0,1,0]
	s_waitcnt vmcnt(30)
	v_lshrrev_b32_e32 v47, 16, v205
	v_cvt_f16_i16_sdwa v187, sext(v205) dst_sel:DWORD dst_unused:UNUSED_PAD src0_sel:BYTE_0
	v_cvt_f16_i16_sdwa v188, sext(v205) dst_sel:DWORD dst_unused:UNUSED_PAD src0_sel:BYTE_1
	v_pack_b32_f16 v187, v187, v188
	v_cvt_f16_i16_sdwa v188, sext(v47) dst_sel:DWORD dst_unused:UNUSED_PAD src0_sel:BYTE_0
	v_cvt_f16_i16_sdwa v47, sext(v47) dst_sel:DWORD dst_unused:UNUSED_PAD src0_sel:BYTE_1
	v_pack_b32_f16 v47, v188, v47
	v_pk_fma_f16 v44, v198, v43, v202 op_sel:[0,1,0]
	v_pk_fma_f16 v43, v199, v43, v204 op_sel:[0,1,0]
	buffer_store_dword v185, off, s[0:3], 0 offset:8
	buffer_store_dword v44, off, s[0:3], 0 offset:24
	;; [unrolled: 1-line block ×4, first 2 shown]
	s_waitcnt vmcnt(19)
	v_cvt_f16_i16_sdwa v189, sext(v210) dst_sel:DWORD dst_unused:UNUSED_PAD src0_sel:BYTE_0
	v_cvt_f16_i16_sdwa v190, sext(v210) dst_sel:DWORD dst_unused:UNUSED_PAD src0_sel:BYTE_1
	s_waitcnt vmcnt(17)
	v_pk_mul_f16 v187, v187, v212 op_sel_hi:[1,0]
	v_pk_mul_f16 v47, v212, v47 op_sel_hi:[0,1]
	s_waitcnt lgkmcnt(0)
	v_pk_fma_f16 v188, v187, v32, v196 op_sel_hi:[1,0,1]
	v_pk_fma_f16 v46, v187, v36, v46 op_sel_hi:[1,0,1]
	;; [unrolled: 1-line block ×4, first 2 shown]
	v_lshrrev_b32_e32 v47, 16, v210
	v_pack_b32_f16 v189, v189, v190
	v_cvt_f16_i16_sdwa v190, sext(v47) dst_sel:DWORD dst_unused:UNUSED_PAD src0_sel:BYTE_0
	v_cvt_f16_i16_sdwa v47, sext(v47) dst_sel:DWORD dst_unused:UNUSED_PAD src0_sel:BYTE_1
	v_pack_b32_f16 v47, v190, v47
	v_pk_mul_f16 v189, v189, v211 op_sel_hi:[1,0]
	v_pk_mul_f16 v47, v211, v47 op_sel_hi:[0,1]
	v_pk_fma_f16 v185, v189, v32, v185 op_sel_hi:[1,0,1]
	v_pk_fma_f16 v44, v189, v36, v44 op_sel_hi:[1,0,1]
	;; [unrolled: 1-line block ×4, first 2 shown]
	v_lshrrev_b32_e32 v47, 16, v208
	v_cvt_f16_i16_sdwa v189, sext(v208) dst_sel:DWORD dst_unused:UNUSED_PAD src0_sel:BYTE_0
	v_cvt_f16_i16_sdwa v190, sext(v208) dst_sel:DWORD dst_unused:UNUSED_PAD src0_sel:BYTE_1
	v_pack_b32_f16 v189, v189, v190
	v_cvt_f16_i16_sdwa v190, sext(v47) dst_sel:DWORD dst_unused:UNUSED_PAD src0_sel:BYTE_0
	v_cvt_f16_i16_sdwa v47, sext(v47) dst_sel:DWORD dst_unused:UNUSED_PAD src0_sel:BYTE_1
	v_pack_b32_f16 v47, v190, v47
	v_pk_mul_f16 v189, v189, v209 op_sel_hi:[1,0]
	v_pk_mul_f16 v47, v209, v47 op_sel_hi:[0,1]
	buffer_store_dword v188, off, s[0:3], 0
	buffer_store_dword v46, off, s[0:3], 0 offset:16
	buffer_store_dword v187, off, s[0:3], 0 offset:4
	;; [unrolled: 1-line block ×3, first 2 shown]
	v_pk_fma_f16 v188, v189, v32, v188 op_sel:[0,1,0]
	v_pk_fma_f16 v46, v189, v36, v46 op_sel:[0,1,0]
	;; [unrolled: 1-line block ×4, first 2 shown]
	v_lshrrev_b32_e32 v47, 16, v206
	v_cvt_f16_i16_sdwa v189, sext(v206) dst_sel:DWORD dst_unused:UNUSED_PAD src0_sel:BYTE_0
	v_cvt_f16_i16_sdwa v190, sext(v206) dst_sel:DWORD dst_unused:UNUSED_PAD src0_sel:BYTE_1
	v_pack_b32_f16 v189, v189, v190
	v_cvt_f16_i16_sdwa v190, sext(v47) dst_sel:DWORD dst_unused:UNUSED_PAD src0_sel:BYTE_0
	v_cvt_f16_i16_sdwa v47, sext(v47) dst_sel:DWORD dst_unused:UNUSED_PAD src0_sel:BYTE_1
	v_pack_b32_f16 v47, v190, v47
	v_pk_mul_f16 v189, v189, v207 op_sel_hi:[1,0]
	v_pk_mul_f16 v47, v207, v47 op_sel_hi:[0,1]
	buffer_store_dword v185, off, s[0:3], 0 offset:8
	buffer_store_dword v44, off, s[0:3], 0 offset:24
	;; [unrolled: 1-line block ×4, first 2 shown]
	v_pk_fma_f16 v185, v189, v32, v185 op_sel:[0,1,0]
	v_pk_fma_f16 v44, v189, v36, v44 op_sel:[0,1,0]
	;; [unrolled: 1-line block ×4, first 2 shown]
	s_waitcnt vmcnt(24)
	v_lshrrev_b32_e32 v43, 16, v200
	v_cvt_f16_i16_sdwa v45, sext(v200) dst_sel:DWORD dst_unused:UNUSED_PAD src0_sel:BYTE_0
	v_cvt_f16_i16_sdwa v47, sext(v200) dst_sel:DWORD dst_unused:UNUSED_PAD src0_sel:BYTE_1
	v_pack_b32_f16 v45, v45, v47
	v_cvt_f16_i16_sdwa v47, sext(v43) dst_sel:DWORD dst_unused:UNUSED_PAD src0_sel:BYTE_0
	v_cvt_f16_i16_sdwa v43, sext(v43) dst_sel:DWORD dst_unused:UNUSED_PAD src0_sel:BYTE_1
	v_pack_b32_f16 v43, v47, v43
	buffer_store_dword v42, off, s[0:3], 0 offset:20
	buffer_store_dword v32, off, s[0:3], 0 offset:12
	;; [unrolled: 1-line block ×3, first 2 shown]
	s_waitcnt vmcnt(15)
	v_pk_mul_f16 v45, v45, v41 op_sel_hi:[1,0]
	v_pk_mul_f16 v41, v41, v43 op_sel_hi:[0,1]
	v_pk_fma_f16 v198, v41, v33, v187 op_sel_hi:[1,0,1]
	v_pk_fma_f16 v199, v41, v37, v42 op_sel_hi:[1,0,1]
	v_lshrrev_b32_e32 v41, 16, v186
	v_cvt_f16_i16_sdwa v42, sext(v186) dst_sel:DWORD dst_unused:UNUSED_PAD src0_sel:BYTE_0
	v_cvt_f16_i16_sdwa v43, sext(v186) dst_sel:DWORD dst_unused:UNUSED_PAD src0_sel:BYTE_1
	v_pack_b32_f16 v42, v42, v43
	v_cvt_f16_i16_sdwa v43, sext(v41) dst_sel:DWORD dst_unused:UNUSED_PAD src0_sel:BYTE_0
	v_cvt_f16_i16_sdwa v41, sext(v41) dst_sel:DWORD dst_unused:UNUSED_PAD src0_sel:BYTE_1
	v_pack_b32_f16 v41, v43, v41
	v_pk_mul_f16 v42, v42, v40 op_sel_hi:[1,0]
	v_pk_mul_f16 v40, v40, v41 op_sel_hi:[0,1]
	v_pk_fma_f16 v32, v40, v33, v32 op_sel_hi:[1,0,1]
	v_pk_fma_f16 v36, v40, v37, v36 op_sel_hi:[1,0,1]
	v_add_co_u32_e32 v40, vcc, s8, v162
	v_addc_co_u32_e32 v41, vcc, v184, v119, vcc
	buffer_store_dword v185, off, s[0:3], 0 offset:8
	v_pk_fma_f16 v185, v42, v33, v185 op_sel_hi:[1,0,1]
	v_pk_fma_f16 v200, v42, v37, v44 op_sel_hi:[1,0,1]
	v_mad_u64_u32 v[42:43], s[16:17], v104, 34, v[40:41]
	buffer_store_dword v44, off, s[0:3], 0 offset:24
	v_add_co_u32_e32 v44, vcc, v42, v106
	v_pk_fma_f16 v196, v45, v33, v188 op_sel_hi:[1,0,1]
	v_pk_fma_f16 v197, v45, v37, v46 op_sel_hi:[1,0,1]
	v_addc_co_u32_e32 v45, vcc, 0, v43, vcc
	v_mad_u64_u32 v[40:41], s[16:17], v88, 34, v[40:41]
	global_load_dword v201, v[44:45], off offset:2
	v_add_co_u32_e32 v44, vcc, v40, v90
	v_addc_co_u32_e32 v45, vcc, 0, v41, vcc
	buffer_store_dword v46, off, s[0:3], 0 offset:16
	v_add_co_u32_e32 v46, vcc, s8, v164
	v_addc_co_u32_e32 v47, vcc, v184, v121, vcc
	buffer_store_dword v187, off, s[0:3], 0 offset:4
	v_mad_u64_u32 v[186:187], s[16:17], v104, 34, v[46:47]
	buffer_store_dword v188, off, s[0:3], 0
	v_add_co_u32_e32 v188, vcc, v186, v106
	v_addc_co_u32_e32 v189, vcc, 0, v187, vcc
	v_mad_u64_u32 v[46:47], s[16:17], v88, 34, v[46:47]
	v_add_co_u32_e32 v190, vcc, v46, v90
	buffer_store_dword v196, off, s[0:3], 0
	buffer_store_dword v197, off, s[0:3], 0 offset:16
	buffer_store_dword v198, off, s[0:3], 0 offset:4
	;; [unrolled: 1-line block ×6, first 2 shown]
	v_addc_co_u32_e32 v191, vcc, 0, v47, vcc
	global_load_dword v190, v[190:191], off offset:2
	s_nop 0
	global_load_ushort v191, v[46:47], off
	global_load_dword v202, v[188:189], off offset:2
	global_load_ushort v203, v[186:187], off
	global_load_dword v204, v[44:45], off offset:2
	global_load_ushort v205, v[40:41], off
	global_load_ushort v206, v[42:43], off
	v_lshrrev_b32_e32 v40, 16, v192
	v_cvt_f16_i16_sdwa v41, sext(v192) dst_sel:DWORD dst_unused:UNUSED_PAD src0_sel:BYTE_0
	v_cvt_f16_i16_sdwa v42, sext(v192) dst_sel:DWORD dst_unused:UNUSED_PAD src0_sel:BYTE_1
	v_pack_b32_f16 v41, v41, v42
	v_cvt_f16_i16_sdwa v42, sext(v40) dst_sel:DWORD dst_unused:UNUSED_PAD src0_sel:BYTE_0
	v_cvt_f16_i16_sdwa v40, sext(v40) dst_sel:DWORD dst_unused:UNUSED_PAD src0_sel:BYTE_1
	v_pk_mul_f16 v41, v41, v193 op_sel_hi:[1,0]
	v_pack_b32_f16 v40, v42, v40
	v_pk_mul_f16 v40, v193, v40 op_sel_hi:[0,1]
	v_pk_fma_f16 v192, v41, v33, v196 op_sel:[0,1,0]
	v_pk_fma_f16 v193, v41, v37, v197 op_sel:[0,1,0]
	v_cvt_f16_i16_sdwa v41, sext(v194) dst_sel:DWORD dst_unused:UNUSED_PAD src0_sel:BYTE_0
	v_cvt_f16_i16_sdwa v42, sext(v194) dst_sel:DWORD dst_unused:UNUSED_PAD src0_sel:BYTE_1
	v_pk_fma_f16 v196, v40, v33, v198 op_sel:[0,1,0]
	v_pk_fma_f16 v197, v40, v37, v199 op_sel:[0,1,0]
	v_lshrrev_b32_e32 v40, 16, v194
	v_pack_b32_f16 v41, v41, v42
	v_pk_mul_f16 v194, v41, v195 op_sel_hi:[1,0]
	v_cvt_f16_i16_sdwa v41, sext(v40) dst_sel:DWORD dst_unused:UNUSED_PAD src0_sel:BYTE_0
	v_cvt_f16_i16_sdwa v40, sext(v40) dst_sel:DWORD dst_unused:UNUSED_PAD src0_sel:BYTE_1
	v_pack_b32_f16 v40, v41, v40
	v_pk_mul_f16 v195, v195, v40 op_sel_hi:[0,1]
	v_add_co_u32_e32 v40, vcc, s8, v166
	v_addc_co_u32_e32 v41, vcc, v184, v123, vcc
	v_mad_u64_u32 v[42:43], s[16:17], v104, 34, v[40:41]
	v_add_co_u32_e32 v44, vcc, v42, v106
	v_addc_co_u32_e32 v45, vcc, 0, v43, vcc
	v_mad_u64_u32 v[40:41], s[16:17], v88, 34, v[40:41]
	global_load_dword v199, v[44:45], off offset:2
	v_add_co_u32_e32 v44, vcc, v40, v90
	v_addc_co_u32_e32 v45, vcc, 0, v41, vcc
	v_add_co_u32_e32 v46, vcc, s8, v168
	v_addc_co_u32_e32 v47, vcc, v184, v125, vcc
	v_pk_fma_f16 v198, v194, v33, v185 op_sel:[0,1,0]
	v_mad_u64_u32 v[184:185], s[16:17], v104, 34, v[46:47]
	v_add_co_u32_e32 v186, vcc, v184, v106
	v_addc_co_u32_e32 v187, vcc, 0, v185, vcc
	v_mad_u64_u32 v[46:47], s[16:17], v88, 34, v[46:47]
	v_add_co_u32_e32 v188, vcc, v46, v90
	buffer_store_dword v36, off, s[0:3], 0 offset:28
	buffer_store_dword v192, off, s[0:3], 0
	buffer_store_dword v193, off, s[0:3], 0 offset:16
	buffer_store_dword v196, off, s[0:3], 0 offset:4
	;; [unrolled: 1-line block ×3, first 2 shown]
	v_addc_co_u32_e32 v189, vcc, 0, v47, vcc
	global_load_dword v188, v[188:189], off offset:2
	s_nop 0
	global_load_ushort v46, v[46:47], off
	s_nop 0
	global_load_dword v47, v[186:187], off offset:2
	s_nop 0
	global_load_ushort v184, v[184:185], off
	s_nop 0
	;; [unrolled: 4-line block ×3, first 2 shown]
	global_load_ushort v41, v[42:43], off
	v_pk_fma_f16 v42, v194, v37, v200 op_sel:[0,1,0]
	v_pk_fma_f16 v32, v195, v33, v32 op_sel:[0,1,0]
	;; [unrolled: 1-line block ×3, first 2 shown]
	s_waitcnt vmcnt(30)
	v_lshrrev_b32_e32 v36, 16, v201
	v_cvt_f16_i16_sdwa v37, sext(v201) dst_sel:DWORD dst_unused:UNUSED_PAD src0_sel:BYTE_0
	v_cvt_f16_i16_sdwa v43, sext(v201) dst_sel:DWORD dst_unused:UNUSED_PAD src0_sel:BYTE_1
	buffer_store_dword v42, off, s[0:3], 0 offset:24
	buffer_store_dword v32, off, s[0:3], 0 offset:12
	;; [unrolled: 1-line block ×3, first 2 shown]
	v_pack_b32_f16 v37, v37, v43
	v_cvt_f16_i16_sdwa v43, sext(v36) dst_sel:DWORD dst_unused:UNUSED_PAD src0_sel:BYTE_0
	v_cvt_f16_i16_sdwa v36, sext(v36) dst_sel:DWORD dst_unused:UNUSED_PAD src0_sel:BYTE_1
	v_pack_b32_f16 v36, v43, v36
	s_waitcnt vmcnt(20)
	v_cvt_f16_i16_sdwa v189, sext(v202) dst_sel:DWORD dst_unused:UNUSED_PAD src0_sel:BYTE_1
	buffer_store_dword v198, off, s[0:3], 0 offset:8
	s_waitcnt vmcnt(19)
	v_lshrrev_b32_e32 v185, 16, v204
	v_cvt_f16_i16_sdwa v186, sext(v204) dst_sel:DWORD dst_unused:UNUSED_PAD src0_sel:BYTE_0
	v_cvt_f16_i16_sdwa v187, sext(v204) dst_sel:DWORD dst_unused:UNUSED_PAD src0_sel:BYTE_1
	v_pack_b32_f16 v186, v186, v187
	v_cvt_f16_i16_sdwa v187, sext(v185) dst_sel:DWORD dst_unused:UNUSED_PAD src0_sel:BYTE_0
	v_cvt_f16_i16_sdwa v185, sext(v185) dst_sel:DWORD dst_unused:UNUSED_PAD src0_sel:BYTE_1
	v_pack_b32_f16 v185, v187, v185
	s_waitcnt vmcnt(18)
	v_pk_mul_f16 v186, v186, v205 op_sel_hi:[1,0]
	v_pk_mul_f16 v185, v205, v185 op_sel_hi:[0,1]
	v_pk_fma_f16 v187, v186, v34, v198 op_sel_hi:[1,0,1]
	v_pk_fma_f16 v42, v186, v38, v42 op_sel_hi:[1,0,1]
	;; [unrolled: 1-line block ×4, first 2 shown]
	v_lshrrev_b32_e32 v185, 16, v202
	v_cvt_f16_i16_sdwa v186, sext(v202) dst_sel:DWORD dst_unused:UNUSED_PAD src0_sel:BYTE_0
	v_pack_b32_f16 v186, v186, v189
	v_cvt_f16_i16_sdwa v189, sext(v185) dst_sel:DWORD dst_unused:UNUSED_PAD src0_sel:BYTE_0
	v_cvt_f16_i16_sdwa v185, sext(v185) dst_sel:DWORD dst_unused:UNUSED_PAD src0_sel:BYTE_1
	s_waitcnt vmcnt(17)
	v_pk_mul_f16 v37, v37, v206 op_sel_hi:[1,0]
	v_pk_mul_f16 v36, v206, v36 op_sel_hi:[0,1]
	v_pack_b32_f16 v185, v189, v185
	v_pk_fma_f16 v43, v37, v34, v192 op_sel_hi:[1,0,1]
	v_pk_fma_f16 v37, v37, v38, v193 op_sel_hi:[1,0,1]
	;; [unrolled: 1-line block ×4, first 2 shown]
	v_pk_mul_f16 v186, v186, v203 op_sel_hi:[1,0]
	v_pk_mul_f16 v185, v203, v185 op_sel_hi:[0,1]
	buffer_store_dword v43, off, s[0:3], 0
	buffer_store_dword v37, off, s[0:3], 0 offset:16
	buffer_store_dword v45, off, s[0:3], 0 offset:4
	;; [unrolled: 1-line block ×3, first 2 shown]
	v_pk_fma_f16 v43, v186, v34, v43 op_sel:[0,1,0]
	v_pk_fma_f16 v37, v186, v38, v37 op_sel:[0,1,0]
	;; [unrolled: 1-line block ×4, first 2 shown]
	v_lshrrev_b32_e32 v185, 16, v190
	v_cvt_f16_i16_sdwa v186, sext(v190) dst_sel:DWORD dst_unused:UNUSED_PAD src0_sel:BYTE_0
	v_cvt_f16_i16_sdwa v189, sext(v190) dst_sel:DWORD dst_unused:UNUSED_PAD src0_sel:BYTE_1
	v_pack_b32_f16 v186, v186, v189
	v_cvt_f16_i16_sdwa v189, sext(v185) dst_sel:DWORD dst_unused:UNUSED_PAD src0_sel:BYTE_0
	v_cvt_f16_i16_sdwa v185, sext(v185) dst_sel:DWORD dst_unused:UNUSED_PAD src0_sel:BYTE_1
	v_pack_b32_f16 v185, v189, v185
	v_pk_mul_f16 v186, v186, v191 op_sel_hi:[1,0]
	v_pk_mul_f16 v185, v191, v185 op_sel_hi:[0,1]
	buffer_store_dword v187, off, s[0:3], 0 offset:8
	buffer_store_dword v42, off, s[0:3], 0 offset:24
	;; [unrolled: 1-line block ×4, first 2 shown]
	v_pk_fma_f16 v187, v186, v34, v187 op_sel:[0,1,0]
	v_pk_fma_f16 v42, v186, v38, v42 op_sel:[0,1,0]
	v_pk_fma_f16 v32, v185, v34, v32 op_sel:[0,1,0]
	v_pk_fma_f16 v33, v185, v38, v33 op_sel:[0,1,0]
	s_waitcnt vmcnt(24)
	v_lshrrev_b32_e32 v34, 16, v199
	v_cvt_f16_i16_sdwa v38, sext(v199) dst_sel:DWORD dst_unused:UNUSED_PAD src0_sel:BYTE_0
	v_cvt_f16_i16_sdwa v185, sext(v199) dst_sel:DWORD dst_unused:UNUSED_PAD src0_sel:BYTE_1
	v_pack_b32_f16 v38, v38, v185
	v_cvt_f16_i16_sdwa v185, sext(v34) dst_sel:DWORD dst_unused:UNUSED_PAD src0_sel:BYTE_0
	v_cvt_f16_i16_sdwa v34, sext(v34) dst_sel:DWORD dst_unused:UNUSED_PAD src0_sel:BYTE_1
	v_pack_b32_f16 v34, v185, v34
	buffer_store_dword v43, off, s[0:3], 0
	buffer_store_dword v37, off, s[0:3], 0 offset:16
	buffer_store_dword v36, off, s[0:3], 0 offset:20
	;; [unrolled: 1-line block ×4, first 2 shown]
	s_waitcnt vmcnt(17)
	v_pk_mul_f16 v38, v38, v41 op_sel_hi:[1,0]
	v_pk_mul_f16 v34, v41, v34 op_sel_hi:[0,1]
	v_pk_fma_f16 v41, v38, v35, v43 op_sel_hi:[1,0,1]
	v_pk_fma_f16 v37, v38, v39, v37 op_sel_hi:[1,0,1]
	;; [unrolled: 1-line block ×4, first 2 shown]
	v_lshrrev_b32_e32 v36, 16, v44
	v_cvt_f16_i16_sdwa v43, sext(v44) dst_sel:DWORD dst_unused:UNUSED_PAD src0_sel:BYTE_0
	v_cvt_f16_i16_sdwa v44, sext(v44) dst_sel:DWORD dst_unused:UNUSED_PAD src0_sel:BYTE_1
	v_pack_b32_f16 v43, v43, v44
	v_cvt_f16_i16_sdwa v44, sext(v36) dst_sel:DWORD dst_unused:UNUSED_PAD src0_sel:BYTE_0
	v_cvt_f16_i16_sdwa v36, sext(v36) dst_sel:DWORD dst_unused:UNUSED_PAD src0_sel:BYTE_1
	v_pack_b32_f16 v36, v44, v36
	v_pk_mul_f16 v43, v43, v40 op_sel_hi:[1,0]
	v_pk_mul_f16 v36, v40, v36 op_sel_hi:[0,1]
	buffer_store_dword v33, off, s[0:3], 0 offset:28
	v_pk_fma_f16 v40, v43, v35, v187 op_sel_hi:[1,0,1]
	v_pk_fma_f16 v42, v43, v39, v42 op_sel_hi:[1,0,1]
	;; [unrolled: 1-line block ×4, first 2 shown]
	v_lshrrev_b32_e32 v36, 16, v47
	v_cvt_f16_i16_sdwa v43, sext(v47) dst_sel:DWORD dst_unused:UNUSED_PAD src0_sel:BYTE_0
	v_cvt_f16_i16_sdwa v44, sext(v47) dst_sel:DWORD dst_unused:UNUSED_PAD src0_sel:BYTE_1
	v_pack_b32_f16 v43, v43, v44
	v_cvt_f16_i16_sdwa v44, sext(v36) dst_sel:DWORD dst_unused:UNUSED_PAD src0_sel:BYTE_0
	v_cvt_f16_i16_sdwa v36, sext(v36) dst_sel:DWORD dst_unused:UNUSED_PAD src0_sel:BYTE_1
	v_pk_mul_f16 v43, v43, v184 op_sel_hi:[1,0]
	v_pack_b32_f16 v36, v44, v36
	buffer_store_dword v37, off, s[0:3], 0 offset:16
	v_pk_mul_f16 v36, v184, v36 op_sel_hi:[0,1]
	v_pk_fma_f16 v37, v43, v39, v37 op_sel:[0,1,0]
	buffer_store_dword v34, off, s[0:3], 0 offset:20
	buffer_store_dword v37, off, s[0:3], 0 offset:16
	v_pk_fma_f16 v37, v36, v35, v38 op_sel:[0,1,0]
	v_pk_fma_f16 v34, v36, v39, v34 op_sel:[0,1,0]
	buffer_store_dword v45, off, s[0:3], 0 offset:4
	buffer_store_dword v38, off, s[0:3], 0 offset:4
	;; [unrolled: 1-line block ×4, first 2 shown]
	v_lshrrev_b32_e32 v34, 16, v188
	v_cvt_f16_i16_sdwa v36, sext(v188) dst_sel:DWORD dst_unused:UNUSED_PAD src0_sel:BYTE_0
	v_cvt_f16_i16_sdwa v37, sext(v188) dst_sel:DWORD dst_unused:UNUSED_PAD src0_sel:BYTE_1
	v_pack_b32_f16 v36, v36, v37
	v_cvt_f16_i16_sdwa v37, sext(v34) dst_sel:DWORD dst_unused:UNUSED_PAD src0_sel:BYTE_0
	v_cvt_f16_i16_sdwa v34, sext(v34) dst_sel:DWORD dst_unused:UNUSED_PAD src0_sel:BYTE_1
	v_pack_b32_f16 v34, v37, v34
	s_add_u32 s8, s8, s50
	v_pk_mul_f16 v34, v46, v34 op_sel_hi:[0,1]
	s_addc_u32 s27, s27, 0
	s_lshl_b64 s[16:17], s[42:43], 1
	buffer_store_dword v32, off, s[0:3], 0 offset:12
	v_pk_fma_f16 v32, v34, v35, v32 op_sel:[0,1,0]
	s_add_u32 s36, s36, s16
	v_pk_mul_f16 v36, v36, v46 op_sel_hi:[1,0]
	buffer_store_dword v32, off, s[0:3], 0 offset:12
	v_pk_fma_f16 v32, v34, v39, v33 op_sel:[0,1,0]
	s_addc_u32 s37, s37, s17
	buffer_store_dword v41, off, s[0:3], 0
	buffer_store_dword v33, off, s[0:3], 0 offset:28
	v_pk_fma_f16 v41, v43, v35, v41 op_sel:[0,1,0]
	v_pk_fma_f16 v37, v36, v35, v40 op_sel:[0,1,0]
	;; [unrolled: 1-line block ×3, first 2 shown]
	buffer_store_dword v32, off, s[0:3], 0 offset:28
	s_cmp_ge_i32 s26, s41
	v_mov_b32_e32 v32, v172
	v_mov_b32_e32 v33, v173
	buffer_store_dword v187, off, s[0:3], 0 offset:8
	buffer_store_dword v40, off, s[0:3], 0 offset:8
	;; [unrolled: 1-line block ×3, first 2 shown]
	buffer_store_dword v41, off, s[0:3], 0
	buffer_store_dword v37, off, s[0:3], 0 offset:8
	buffer_store_dword v36, off, s[0:3], 0 offset:24
	s_cbranch_scc1 .LBB28_38
.LBB28_22:                              ; =>This Inner Loop Header: Depth=1
	v_mov_b32_e32 v35, s47
	v_add_co_u32_e32 v34, vcc, s39, v96
	v_addc_co_u32_e32 v35, vcc, v35, v1, vcc
	global_load_dword v37, v[34:35], off
	global_load_ushort v36, v[34:35], off offset:4
	global_load_dword v39, v[34:35], off offset:22
	global_load_ushort v38, v[34:35], off offset:26
	global_load_dword v40, v[34:35], off offset:44
	global_load_ushort v46, v[34:35], off offset:48
	v_add_co_u32_e32 v44, vcc, v34, v50
	v_addc_co_u32_e32 v45, vcc, 0, v35, vcc
	global_load_dword v47, v[44:45], off offset:6
	global_load_dword v172, v[44:45], off offset:28
	;; [unrolled: 1-line block ×4, first 2 shown]
	global_load_ushort v186, v[34:35], off offset:70
	global_load_dword v42, v[34:35], off offset:88
	global_load_ushort v187, v[34:35], off offset:92
	global_load_dword v43, v[34:35], off offset:110
	global_load_ushort v189, v[34:35], off offset:114
	global_load_dword v190, v[44:45], off offset:72
	global_load_dword v191, v[44:45], off offset:94
	global_load_dword v193, v[44:45], off offset:116
	;; [unrolled: 1-line block ×4, first 2 shown]
	s_and_b64 vcc, exec, s[22:23]
	s_waitcnt vmcnt(13)
	v_and_b32_e32 v45, 0xf0f0f0f, v47
	v_lshrrev_b32_e32 v47, 4, v47
	s_waitcnt vmcnt(12)
	v_and_b32_e32 v184, 0xf0f0f0f, v172
	v_lshrrev_b32_e32 v172, 4, v172
	v_perm_b32 v36, v37, v36, s46
	v_ashrrev_i32_e32 v44, v50, v36
	v_perm_b32 v38, v39, v38, s46
	v_ashrrev_i32_e32 v36, v143, v36
	v_ashrrev_i32_e32 v173, v50, v38
	;; [unrolled: 1-line block ×3, first 2 shown]
	v_lshlrev_b32_e32 v196, 4, v44
	v_lshlrev_b32_e32 v197, 11, v44
	;; [unrolled: 1-line block ×16, first 2 shown]
	v_perm_b32 v46, v40, v46, s46
	v_and_b32_e32 v47, 0xf0f0f0f, v47
	v_and_b32_e32 v172, 0xf0f0f0f, v172
	;; [unrolled: 1-line block ×10, first 2 shown]
	v_ashrrev_i32_e32 v188, v50, v46
	v_and_b32_e32 v199, 16, v199
	v_and_b32_e32 v200, 0x1000, v200
	;; [unrolled: 1-line block ×6, first 2 shown]
	v_or3_b32 v44, v44, v45, v198
	v_or3_b32 v36, v36, v47, v201
	;; [unrolled: 1-line block ×7, first 2 shown]
	v_lshlrev_b32_e32 v36, 18, v188
	v_lshlrev_b32_e32 v38, 25, v188
	s_waitcnt vmcnt(11)
	v_and_b32_e32 v192, 0xf0f0f0f, v185
	v_lshlrev_b32_e32 v208, 4, v188
	v_lshlrev_b32_e32 v209, 11, v188
	v_and_b32_e32 v36, 0x100000, v36
	v_and_b32_e32 v38, 0x10000000, v38
	;; [unrolled: 1-line block ×6, first 2 shown]
	v_or3_b32 v36, v38, v192, v36
	v_ashrrev_i32_e32 v38, v143, v46
	v_or3_b32 v184, v44, v196, v197
	v_or3_b32 v44, v36, v208, v209
	v_lshrrev_b32_e32 v36, 4, v185
	v_lshlrev_b32_e32 v46, 4, v38
	v_lshlrev_b32_e32 v172, 11, v38
	;; [unrolled: 1-line block ×4, first 2 shown]
	v_and_b32_e32 v36, 0xf0f0f0f, v36
	v_and_b32_e32 v185, 0x100000, v185
	v_and_b32_e32 v38, 0x10000000, v38
	v_and_b32_e32 v46, 16, v46
	v_and_b32_e32 v172, 0x1000, v172
	v_or3_b32 v36, v38, v36, v185
	global_load_dword v188, v[34:35], off offset:132
	global_load_ushort v38, v[34:35], off offset:136
	v_or3_b32 v46, v36, v46, v172
	s_waitcnt vmcnt(11)
	v_perm_b32 v36, v41, v186, s46
	v_ashrrev_i32_e32 v172, v50, v36
	v_lshlrev_b32_e32 v185, 4, v172
	v_lshlrev_b32_e32 v192, 11, v172
	;; [unrolled: 1-line block ×4, first 2 shown]
	s_waitcnt vmcnt(6)
	v_and_b32_e32 v186, 0xf0f0f0f, v190
	v_and_b32_e32 v196, 0x100000, v196
	;; [unrolled: 1-line block ×5, first 2 shown]
	v_or3_b32 v172, v172, v186, v196
	v_ashrrev_i32_e32 v36, v143, v36
	v_or3_b32 v172, v172, v185, v192
	v_lshrrev_b32_e32 v185, 4, v190
	v_lshlrev_b32_e32 v186, 4, v36
	v_lshlrev_b32_e32 v190, 11, v36
	;; [unrolled: 1-line block ×4, first 2 shown]
	v_and_b32_e32 v185, 0xf0f0f0f, v185
	v_and_b32_e32 v192, 0x100000, v192
	;; [unrolled: 1-line block ×3, first 2 shown]
	v_or3_b32 v36, v36, v185, v192
	global_load_dword v192, v[34:35], off offset:154
	global_load_ushort v196, v[34:35], off offset:158
	v_and_b32_e32 v186, 16, v186
	v_and_b32_e32 v190, 0x1000, v190
	v_or3_b32 v34, v36, v186, v190
	v_perm_b32 v36, v42, v187, s46
	v_ashrrev_i32_e32 v35, v50, v36
	v_lshlrev_b32_e32 v185, 4, v35
	v_lshlrev_b32_e32 v187, 11, v35
	;; [unrolled: 1-line block ×4, first 2 shown]
	s_waitcnt vmcnt(7)
	v_and_b32_e32 v186, 0xf0f0f0f, v191
	v_and_b32_e32 v190, 0x100000, v190
	;; [unrolled: 1-line block ×5, first 2 shown]
	v_or3_b32 v35, v35, v186, v190
	v_ashrrev_i32_e32 v36, v143, v36
	v_or3_b32 v35, v35, v185, v187
	v_lshrrev_b32_e32 v185, 4, v191
	v_lshlrev_b32_e32 v186, 4, v36
	v_lshlrev_b32_e32 v187, 11, v36
	;; [unrolled: 1-line block ×4, first 2 shown]
	v_and_b32_e32 v185, 0xf0f0f0f, v185
	v_and_b32_e32 v190, 0x100000, v190
	;; [unrolled: 1-line block ×5, first 2 shown]
	v_or3_b32 v36, v36, v185, v190
	v_or3_b32 v185, v36, v186, v187
	v_perm_b32 v36, v43, v189, s46
	v_ashrrev_i32_e32 v186, v50, v36
	v_lshlrev_b32_e32 v187, 4, v186
	v_lshlrev_b32_e32 v190, 11, v186
	;; [unrolled: 1-line block ×4, first 2 shown]
	s_waitcnt vmcnt(6)
	v_and_b32_e32 v189, 0xf0f0f0f, v193
	v_and_b32_e32 v191, 0x100000, v191
	;; [unrolled: 1-line block ×5, first 2 shown]
	v_or3_b32 v186, v186, v189, v191
	v_ashrrev_i32_e32 v36, v143, v36
	v_or3_b32 v186, v186, v187, v190
	v_lshrrev_b32_e32 v187, 4, v193
	v_lshlrev_b32_e32 v189, 4, v36
	v_lshlrev_b32_e32 v190, 11, v36
	;; [unrolled: 1-line block ×4, first 2 shown]
	v_and_b32_e32 v187, 0xf0f0f0f, v187
	v_and_b32_e32 v191, 0x100000, v191
	;; [unrolled: 1-line block ×5, first 2 shown]
	v_or3_b32 v36, v36, v187, v191
	v_or3_b32 v187, v36, v189, v190
	s_waitcnt vmcnt(2)
	v_perm_b32 v36, v188, v38, s46
	v_ashrrev_i32_e32 v38, v50, v36
	v_lshlrev_b32_e32 v189, 4, v38
	v_lshlrev_b32_e32 v191, 11, v38
	;; [unrolled: 1-line block ×4, first 2 shown]
	v_and_b32_e32 v190, 0xf0f0f0f, v194
	v_and_b32_e32 v193, 0x100000, v193
	;; [unrolled: 1-line block ×5, first 2 shown]
	v_or3_b32 v38, v38, v190, v193
	v_ashrrev_i32_e32 v36, v143, v36
	v_or3_b32 v189, v38, v189, v191
	v_lshrrev_b32_e32 v38, 4, v194
	v_lshlrev_b32_e32 v190, 4, v36
	v_lshlrev_b32_e32 v191, 11, v36
	v_lshlrev_b32_e32 v193, 18, v36
	v_lshlrev_b32_e32 v36, 25, v36
	v_and_b32_e32 v38, 0xf0f0f0f, v38
	v_and_b32_e32 v193, 0x100000, v193
	;; [unrolled: 1-line block ×5, first 2 shown]
	v_or3_b32 v36, v36, v38, v193
	v_or3_b32 v190, v36, v190, v191
	s_waitcnt vmcnt(0)
	v_perm_b32 v36, v192, v196, s46
	v_ashrrev_i32_e32 v38, v50, v36
	v_lshlrev_b32_e32 v191, 4, v38
	v_lshlrev_b32_e32 v194, 11, v38
	;; [unrolled: 1-line block ×4, first 2 shown]
	v_and_b32_e32 v193, 0xf0f0f0f, v195
	v_and_b32_e32 v196, 0x100000, v196
	;; [unrolled: 1-line block ×5, first 2 shown]
	v_or3_b32 v38, v38, v193, v196
	v_ashrrev_i32_e32 v36, v143, v36
	v_or3_b32 v191, v38, v191, v194
	v_lshrrev_b32_e32 v38, 4, v195
	v_lshlrev_b32_e32 v193, 4, v36
	v_lshlrev_b32_e32 v194, 11, v36
	v_lshlrev_b32_e32 v195, 18, v36
	v_lshlrev_b32_e32 v36, 25, v36
	v_and_b32_e32 v38, 0xf0f0f0f, v38
	v_and_b32_e32 v195, 0x100000, v195
	;; [unrolled: 1-line block ×3, first 2 shown]
	v_or3_b32 v36, v36, v38, v195
	v_mov_b32_e32 v38, 0
	v_mov_b32_e32 v195, 0
	v_dot4c_i32_i8_e32 v38, v184, v52
	v_dot4c_i32_i8_e32 v195, v173, v53
	v_and_b32_e32 v193, 16, v193
	v_and_b32_e32 v194, 0x1000, v194
	v_cvt_f32_i32_e32 v38, v38
	v_cvt_f32_i32_e32 v195, v195
	v_or3_b32 v193, v36, v193, v194
	v_mov_b32_e32 v194, 0
	v_fma_f32 v36, v0, v38, -v149
	v_fma_f32 v38, v0, v195, -v149
	v_dot4c_i32_i8_e32 v194, v47, v54
	v_mov_b32_e32 v195, 0
	v_dot4c_i32_i8_e32 v195, v45, v55
	v_fma_mix_f32 v36, v36, v37, 0 op_sel_hi:[0,1,0]
	v_cvt_f32_i32_e32 v194, v194
	v_fma_mix_f32 v36, v38, v37, v36 op_sel_hi:[0,1,0]
	v_cvt_f32_i32_e32 v195, v195
	v_fma_f32 v38, v2, v194, -v151
	v_mov_b32_e32 v194, 0
	v_fma_mix_f32 v36, v38, v39, v36 op_sel_hi:[0,1,0]
	v_fma_f32 v38, v2, v195, -v151
	v_dot4c_i32_i8_e32 v194, v44, v56
	v_mov_b32_e32 v195, 0
	v_dot4c_i32_i8_e32 v195, v46, v57
	v_fma_mix_f32 v36, v38, v39, v36 op_sel_hi:[0,1,0]
	v_cvt_f32_i32_e32 v194, v194
	v_fma_f32 v38, v4, v194, -v153
	v_cvt_f32_i32_e32 v195, v195
	v_mov_b32_e32 v194, 0
	v_fma_mix_f32 v36, v38, v40, v36 op_sel_hi:[0,1,0]
	v_dot4c_i32_i8_e32 v194, v172, v58
	v_fma_f32 v38, v4, v195, -v153
	v_mov_b32_e32 v195, 0
	v_dot4c_i32_i8_e32 v195, v34, v59
	v_cvt_f32_i32_e32 v194, v194
	v_fma_mix_f32 v36, v38, v40, v36 op_sel_hi:[0,1,0]
	v_fma_f32 v38, v6, v194, -v155
	v_cvt_f32_i32_e32 v195, v195
	v_mov_b32_e32 v194, 0
	v_fma_mix_f32 v36, v38, v41, v36 op_sel_hi:[0,1,0]
	v_dot4c_i32_i8_e32 v194, v35, v60
	v_fma_f32 v38, v6, v195, -v155
	v_mov_b32_e32 v195, 0
	v_dot4c_i32_i8_e32 v195, v185, v61
	v_cvt_f32_i32_e32 v194, v194
	v_fma_mix_f32 v36, v38, v41, v36 op_sel_hi:[0,1,0]
	;; [unrolled: 10-line block ×5, first 2 shown]
	v_fma_f32 v38, v14, v194, -v163
	v_cvt_f32_i32_e32 v195, v195
	v_fma_mix_f32 v36, v38, v192, v36 op_sel_hi:[0,1,0]
	v_fma_f32 v38, v14, v195, -v163
	v_fma_mix_f32 v36, v38, v192, v36 op_sel_hi:[0,1,0]
	ds_bpermute_b32 v38, v145, v36
	s_waitcnt lgkmcnt(0)
	v_add_f32_e32 v36, v36, v38
	ds_bpermute_b32 v38, v147, v36
	s_waitcnt lgkmcnt(0)
	v_add_f32_e32 v36, v36, v38
	v_lshlrev_b32_e32 v38, 1, v84
	s_cbranch_vccz .LBB28_24
; %bb.23:                               ;   in Loop: Header=BB28_22 Depth=1
	global_load_ushort v194, v38, s[36:37]
	s_waitcnt vmcnt(0)
	v_fma_mix_f32 v36, v139, v194, v36 op_sel_hi:[0,1,0]
.LBB28_24:                              ;   in Loop: Header=BB28_22 Depth=1
	v_mov_b32_e32 v194, 0
	v_dot4c_i32_i8_e32 v194, v184, v68
	v_cvt_f32_f16_e32 v37, v37
	v_cvt_f32_f16_e32 v39, v39
	;; [unrolled: 1-line block ×3, first 2 shown]
	v_cvt_f32_i32_e32 v184, v194
	v_mov_b32_e32 v194, 0
	v_dot4c_i32_i8_e32 v194, v173, v69
	v_cvt_f32_f16_e32 v41, v41
	v_fma_f32 v184, v16, v184, -v165
	v_fma_f32 v184, v184, v37, 0
	v_cvt_f32_i32_e32 v173, v194
	v_mov_b32_e32 v194, 0
	v_dot4c_i32_i8_e32 v194, v47, v70
	v_cvt_f32_f16_e32 v42, v42
	v_fma_f32 v173, v16, v173, -v165
	v_fmac_f32_e32 v184, v173, v37
	v_cvt_f32_i32_e32 v47, v194
	v_mov_b32_e32 v194, 0
	v_dot4c_i32_i8_e32 v194, v45, v71
	v_cvt_f32_f16_e32 v43, v43
	v_fma_f32 v37, v18, v47, -v167
	v_fmac_f32_e32 v184, v37, v39
	v_cvt_f32_i32_e32 v45, v194
	v_cvt_f32_f16_e32 v188, v188
	v_cvt_f32_f16_e32 v192, v192
	s_andn2_b64 vcc, exec, s[44:45]
	v_fma_f32 v37, v18, v45, -v167
	v_mov_b32_e32 v45, 0
	v_dot4c_i32_i8_e32 v45, v44, v72
	v_fmac_f32_e32 v184, v37, v39
	v_mov_b32_e32 v39, 0
	v_dot4c_i32_i8_e32 v39, v172, v74
	v_cvt_f32_i32_e32 v44, v45
	v_mov_b32_e32 v45, 0
	v_dot4c_i32_i8_e32 v45, v46, v73
	v_cvt_f32_i32_e32 v39, v39
	v_fma_f32 v37, v20, v44, -v169
	v_fmac_f32_e32 v184, v37, v40
	v_cvt_f32_i32_e32 v45, v45
	v_mov_b32_e32 v44, 0
	v_dot4c_i32_i8_e32 v44, v34, v75
	v_fma_f32 v37, v20, v45, -v169
	v_fmac_f32_e32 v184, v37, v40
	v_fma_f32 v37, v22, v39, -v174
	v_fmac_f32_e32 v184, v37, v41
	v_mov_b32_e32 v37, 0
	v_dot4c_i32_i8_e32 v37, v35, v76
	v_cvt_f32_i32_e32 v34, v44
	v_fma_f32 v34, v22, v34, -v174
	s_nop 0
	v_cvt_f32_i32_e32 v35, v37
	v_mov_b32_e32 v37, 0
	v_dot4c_i32_i8_e32 v37, v185, v77
	v_fmac_f32_e32 v184, v34, v41
	v_fma_f32 v34, v24, v35, -v175
	v_mov_b32_e32 v35, 0
	v_cvt_f32_i32_e32 v37, v37
	v_fmac_f32_e32 v184, v34, v42
	v_dot4c_i32_i8_e32 v35, v186, v78
	v_fma_f32 v34, v24, v37, -v175
	v_mov_b32_e32 v37, 0
	s_nop 0
	v_cvt_f32_i32_e32 v35, v35
	v_dot4c_i32_i8_e32 v37, v187, v79
	v_fmac_f32_e32 v184, v34, v42
	v_fma_f32 v34, v26, v35, -v176
	s_nop 0
	v_cvt_f32_i32_e32 v37, v37
	v_mov_b32_e32 v35, 0
	v_fmac_f32_e32 v184, v34, v43
	v_dot4c_i32_i8_e32 v35, v189, v80
	v_fma_f32 v34, v26, v37, -v176
	v_mov_b32_e32 v37, 0
	v_dot4c_i32_i8_e32 v37, v190, v81
	v_cvt_f32_i32_e32 v35, v35
	v_fmac_f32_e32 v184, v34, v43
	v_fma_f32 v34, v28, v35, -v177
	v_cvt_f32_i32_e32 v37, v37
	v_mov_b32_e32 v35, 0
	v_fmac_f32_e32 v184, v34, v188
	v_dot4c_i32_i8_e32 v35, v191, v82
	v_fma_f32 v34, v28, v37, -v177
	v_mov_b32_e32 v37, 0
	v_dot4c_i32_i8_e32 v37, v193, v83
	v_cvt_f32_i32_e32 v35, v35
	v_fmac_f32_e32 v184, v34, v188
	v_fma_f32 v34, v30, v35, -v178
	v_cvt_f32_i32_e32 v37, v37
	v_fmac_f32_e32 v184, v34, v192
	v_fma_f32 v34, v30, v37, -v178
	v_fmac_f32_e32 v184, v34, v192
	ds_bpermute_b32 v34, v145, v184
	v_cndmask_b32_e64 v37, 0, 1, s[44:45]
	v_cmp_ne_u32_e64 s[16:17], 1, v37
	s_waitcnt lgkmcnt(0)
	v_add_f32_e32 v34, v184, v34
	ds_bpermute_b32 v35, v147, v34
	s_waitcnt lgkmcnt(0)
	v_add_f32_e32 v37, v34, v35
	s_cbranch_vccnz .LBB28_26
; %bb.25:                               ;   in Loop: Header=BB28_22 Depth=1
	v_mov_b32_e32 v35, s37
	v_add_co_u32_e32 v34, vcc, s36, v92
	v_addc_co_u32_e32 v35, vcc, v35, v93, vcc
	global_load_ushort v34, v[34:35], off
	s_waitcnt vmcnt(0)
	v_fma_mix_f32 v37, v139, v34, v37 op_sel_hi:[0,1,0]
.LBB28_26:                              ;   in Loop: Header=BB28_22 Depth=1
	v_mov_b32_e32 v35, s47
	v_add_co_u32_e32 v34, vcc, s39, v98
	v_addc_co_u32_e32 v35, vcc, v35, v3, vcc
	global_load_dword v39, v[34:35], off
	global_load_ushort v42, v[34:35], off offset:4
	global_load_dword v191, v[34:35], off offset:22
	global_load_ushort v43, v[34:35], off offset:26
	global_load_dword v192, v[34:35], off offset:44
	global_load_ushort v44, v[34:35], off offset:48
	v_add_co_u32_e32 v40, vcc, v34, v50
	v_addc_co_u32_e32 v41, vcc, 0, v35, vcc
	global_load_dword v45, v[40:41], off offset:6
	global_load_dword v46, v[40:41], off offset:28
	;; [unrolled: 1-line block ×4, first 2 shown]
	global_load_ushort v184, v[34:35], off offset:70
	global_load_dword v185, v[40:41], off offset:72
	global_load_dword v186, v[40:41], off offset:94
	;; [unrolled: 1-line block ×6, first 2 shown]
	global_load_ushort v211, v[34:35], off offset:92
	s_andn2_b64 vcc, exec, s[22:23]
	s_waitcnt vmcnt(17)
	v_cvt_f32_f16_e32 v41, v39
	s_waitcnt vmcnt(16)
	v_perm_b32 v42, v39, v42, s46
	s_waitcnt vmcnt(10)
	v_and_b32_e32 v194, 0xf0f0f0f, v46
	v_perm_b32 v43, v191, v43, s46
	v_ashrrev_i32_e32 v173, v50, v43
	v_perm_b32 v189, v192, v44, s46
	v_ashrrev_i32_e32 v44, v50, v42
	v_ashrrev_i32_e32 v43, v143, v43
	;; [unrolled: 1-line block ×3, first 2 shown]
	v_lshrrev_b32_e32 v46, 4, v46
	v_lshlrev_b32_e32 v197, 4, v44
	v_lshlrev_b32_e32 v198, 11, v44
	;; [unrolled: 1-line block ×8, first 2 shown]
	v_and_b32_e32 v47, 0xf0f0f0f, v45
	v_lshrrev_b32_e32 v45, 4, v45
	v_lshlrev_b32_e32 v200, 4, v42
	v_lshlrev_b32_e32 v201, 11, v42
	;; [unrolled: 1-line block ×8, first 2 shown]
	v_and_b32_e32 v46, 0xf0f0f0f, v46
	v_and_b32_e32 v199, 0x100000, v199
	;; [unrolled: 1-line block ×5, first 2 shown]
	v_ashrrev_i32_e32 v195, v50, v189
	v_and_b32_e32 v45, 0xf0f0f0f, v45
	v_and_b32_e32 v197, 16, v197
	;; [unrolled: 1-line block ×9, first 2 shown]
	v_or3_b32 v44, v44, v47, v199
	v_or3_b32 v43, v43, v46, v208
	;; [unrolled: 1-line block ×5, first 2 shown]
	global_load_dword v197, v[34:35], off offset:110
	global_load_ushort v194, v[34:35], off offset:114
	v_or3_b32 v44, v43, v206, v207
	v_lshlrev_b32_e32 v43, 18, v195
	v_lshlrev_b32_e32 v46, 25, v195
	s_waitcnt vmcnt(11)
	v_and_b32_e32 v196, 0xf0f0f0f, v172
	v_and_b32_e32 v43, 0x100000, v43
	;; [unrolled: 1-line block ×5, first 2 shown]
	v_or3_b32 v43, v46, v196, v43
	v_lshrrev_b32_e32 v46, 4, v172
	v_ashrrev_i32_e32 v172, v143, v189
	v_lshlrev_b32_e32 v209, 4, v195
	v_or3_b32 v47, v42, v200, v201
	v_lshlrev_b32_e32 v42, 11, v195
	v_lshlrev_b32_e32 v189, 4, v172
	;; [unrolled: 1-line block ×5, first 2 shown]
	v_and_b32_e32 v46, 0xf0f0f0f, v46
	v_and_b32_e32 v196, 0x100000, v196
	;; [unrolled: 1-line block ×5, first 2 shown]
	v_or3_b32 v46, v172, v46, v196
	v_or3_b32 v46, v46, v189, v195
	global_load_dword v196, v[34:35], off offset:132
	global_load_ushort v189, v[34:35], off offset:136
	s_waitcnt vmcnt(11)
	v_perm_b32 v184, v193, v184, s46
	v_ashrrev_i32_e32 v172, v50, v184
	v_lshlrev_b32_e32 v195, 4, v172
	v_lshlrev_b32_e32 v199, 11, v172
	;; [unrolled: 1-line block ×4, first 2 shown]
	s_waitcnt vmcnt(10)
	v_and_b32_e32 v198, 0xf0f0f0f, v185
	v_and_b32_e32 v200, 0x100000, v200
	;; [unrolled: 1-line block ×5, first 2 shown]
	v_or3_b32 v172, v172, v198, v200
	v_ashrrev_i32_e32 v184, v143, v184
	v_or3_b32 v172, v172, v195, v199
	v_lshrrev_b32_e32 v185, 4, v185
	v_lshlrev_b32_e32 v195, 4, v184
	v_lshlrev_b32_e32 v198, 11, v184
	;; [unrolled: 1-line block ×4, first 2 shown]
	v_and_b32_e32 v185, 0xf0f0f0f, v185
	v_and_b32_e32 v199, 0x100000, v199
	;; [unrolled: 1-line block ×3, first 2 shown]
	v_or3_b32 v184, v184, v185, v199
	global_load_dword v199, v[34:35], off offset:154
	global_load_ushort v200, v[34:35], off offset:158
	v_and_b32_e32 v195, 16, v195
	v_and_b32_e32 v198, 0x1000, v198
	v_or3_b32 v34, v184, v195, v198
	s_waitcnt vmcnt(6)
	v_perm_b32 v184, v210, v211, s46
	v_ashrrev_i32_e32 v35, v50, v184
	v_lshlrev_b32_e32 v185, 4, v35
	v_lshlrev_b32_e32 v198, 11, v35
	v_lshlrev_b32_e32 v201, 18, v35
	v_lshlrev_b32_e32 v35, 25, v35
	v_and_b32_e32 v195, 0xf0f0f0f, v186
	v_and_b32_e32 v201, 0x100000, v201
	v_and_b32_e32 v35, 0x10000000, v35
	v_and_b32_e32 v185, 16, v185
	v_and_b32_e32 v198, 0x1000, v198
	v_or3_b32 v35, v35, v195, v201
	v_ashrrev_i32_e32 v184, v143, v184
	v_or3_b32 v35, v35, v185, v198
	v_lshrrev_b32_e32 v185, 4, v186
	v_lshlrev_b32_e32 v186, 4, v184
	v_lshlrev_b32_e32 v195, 11, v184
	v_lshlrev_b32_e32 v198, 18, v184
	v_lshlrev_b32_e32 v184, 25, v184
	v_and_b32_e32 v185, 0xf0f0f0f, v185
	v_and_b32_e32 v198, 0x100000, v198
	v_and_b32_e32 v184, 0x10000000, v184
	v_and_b32_e32 v186, 16, v186
	v_and_b32_e32 v195, 0x1000, v195
	v_or3_b32 v184, v184, v185, v198
	v_or3_b32 v184, v184, v186, v195
	s_waitcnt vmcnt(4)
	v_perm_b32 v186, v197, v194, s46
	v_ashrrev_i32_e32 v185, v50, v186
	v_lshlrev_b32_e32 v194, 4, v185
	v_lshlrev_b32_e32 v198, 11, v185
	v_lshlrev_b32_e32 v201, 18, v185
	v_lshlrev_b32_e32 v185, 25, v185
	v_and_b32_e32 v195, 0xf0f0f0f, v187
	v_and_b32_e32 v201, 0x100000, v201
	v_and_b32_e32 v185, 0x10000000, v185
	v_and_b32_e32 v194, 16, v194
	v_and_b32_e32 v198, 0x1000, v198
	v_or3_b32 v185, v185, v195, v201
	v_ashrrev_i32_e32 v186, v143, v186
	v_or3_b32 v185, v185, v194, v198
	v_lshrrev_b32_e32 v187, 4, v187
	v_lshlrev_b32_e32 v194, 4, v186
	v_lshlrev_b32_e32 v195, 11, v186
	v_lshlrev_b32_e32 v198, 18, v186
	v_lshlrev_b32_e32 v186, 25, v186
	v_and_b32_e32 v187, 0xf0f0f0f, v187
	v_and_b32_e32 v198, 0x100000, v198
	v_and_b32_e32 v186, 0x10000000, v186
	v_and_b32_e32 v194, 16, v194
	v_and_b32_e32 v195, 0x1000, v195
	v_or3_b32 v186, v186, v187, v198
	;; [unrolled: 27-line block ×3, first 2 shown]
	v_or3_b32 v188, v188, v194, v195
	s_waitcnt vmcnt(0)
	v_perm_b32 v194, v199, v200, s46
	v_ashrrev_i32_e32 v189, v50, v194
	v_lshlrev_b32_e32 v195, 4, v189
	v_lshlrev_b32_e32 v200, 11, v189
	;; [unrolled: 1-line block ×4, first 2 shown]
	v_and_b32_e32 v198, 0xf0f0f0f, v190
	v_and_b32_e32 v201, 0x100000, v201
	;; [unrolled: 1-line block ×5, first 2 shown]
	v_or3_b32 v189, v189, v198, v201
	v_ashrrev_i32_e32 v194, v143, v194
	v_or3_b32 v189, v189, v195, v200
	v_lshrrev_b32_e32 v190, 4, v190
	v_lshlrev_b32_e32 v195, 4, v194
	v_lshlrev_b32_e32 v198, 11, v194
	;; [unrolled: 1-line block ×4, first 2 shown]
	v_and_b32_e32 v190, 0xf0f0f0f, v190
	v_and_b32_e32 v200, 0x100000, v200
	;; [unrolled: 1-line block ×3, first 2 shown]
	v_or3_b32 v190, v194, v190, v200
	v_mov_b32_e32 v200, 0
	v_dot4c_i32_i8_e32 v200, v47, v53
	v_mov_b32_e32 v194, 0
	v_dot4c_i32_i8_e32 v194, v173, v52
	v_and_b32_e32 v203, 16, v203
	v_cvt_f32_i32_e32 v200, v200
	v_and_b32_e32 v204, 0x1000, v204
	v_and_b32_e32 v195, 16, v195
	;; [unrolled: 1-line block ×3, first 2 shown]
	v_cvt_f32_i32_e32 v194, v194
	v_or3_b32 v45, v45, v203, v204
	v_or3_b32 v190, v190, v195, v198
	v_mov_b32_e32 v198, 0
	v_fma_f32 v195, v0, v200, -v149
	v_dot4c_i32_i8_e32 v198, v45, v54
	v_mov_b32_e32 v200, 0
	v_dot4c_i32_i8_e32 v200, v44, v55
	v_fma_f32 v194, v0, v194, -v149
	v_cvt_f32_i32_e32 v198, v198
	v_and_b32_e32 v209, 16, v209
	v_cvt_f32_i32_e32 v200, v200
	v_and_b32_e32 v42, 0x1000, v42
	v_fma_mix_f32 v194, v194, v39, 0 op_sel_hi:[0,1,0]
	v_or3_b32 v43, v43, v209, v42
	v_fma_mix_f32 v39, v195, v39, v194 op_sel_hi:[0,1,0]
	v_mov_b32_e32 v195, 0
	v_fma_f32 v194, v2, v198, -v151
	v_dot4c_i32_i8_e32 v195, v43, v56
	v_mov_b32_e32 v198, 0
	v_fma_mix_f32 v39, v194, v191, v39 op_sel_hi:[0,1,0]
	v_fma_f32 v194, v2, v200, -v151
	v_cvt_f32_i32_e32 v195, v195
	v_dot4c_i32_i8_e32 v198, v46, v57
	v_fma_mix_f32 v39, v194, v191, v39 op_sel_hi:[0,1,0]
	v_mov_b32_e32 v194, 0
	v_dot4c_i32_i8_e32 v194, v172, v58
	v_cvt_f32_i32_e32 v198, v198
	v_cvt_f32_f16_e32 v40, v191
	v_fma_f32 v191, v4, v195, -v153
	v_cvt_f32_i32_e32 v194, v194
	v_fma_mix_f32 v39, v191, v192, v39 op_sel_hi:[0,1,0]
	v_fma_f32 v191, v4, v198, -v153
	v_mov_b32_e32 v195, 0
	v_cvt_f32_f16_e32 v42, v192
	v_dot4c_i32_i8_e32 v195, v34, v59
	v_fma_mix_f32 v39, v191, v192, v39 op_sel_hi:[0,1,0]
	v_mov_b32_e32 v192, 0
	v_fma_f32 v191, v6, v194, -v155
	v_cvt_f32_i32_e32 v195, v195
	v_dot4c_i32_i8_e32 v192, v35, v60
	v_mov_b32_e32 v194, 0
	v_dot4c_i32_i8_e32 v194, v184, v61
	v_fma_mix_f32 v39, v191, v193, v39 op_sel_hi:[0,1,0]
	v_cvt_f32_i32_e32 v192, v192
	v_fma_f32 v191, v6, v195, -v155
	v_cvt_f32_i32_e32 v194, v194
	v_fma_mix_f32 v39, v191, v193, v39 op_sel_hi:[0,1,0]
	v_fma_f32 v191, v8, v192, -v157
	v_mov_b32_e32 v192, 0
	v_fma_mix_f32 v39, v191, v210, v39 op_sel_hi:[0,1,0]
	v_fma_f32 v191, v8, v194, -v157
	v_dot4c_i32_i8_e32 v192, v185, v62
	v_mov_b32_e32 v194, 0
	v_dot4c_i32_i8_e32 v194, v186, v63
	v_fma_mix_f32 v39, v191, v210, v39 op_sel_hi:[0,1,0]
	v_cvt_f32_i32_e32 v192, v192
	v_cvt_f32_f16_e32 v195, v193
	v_cvt_f32_i32_e32 v194, v194
	v_cvt_f32_f16_e32 v193, v197
	v_fma_f32 v191, v10, v192, -v159
	v_mov_b32_e32 v192, 0
	v_fma_mix_f32 v39, v191, v197, v39 op_sel_hi:[0,1,0]
	v_fma_f32 v191, v10, v194, -v159
	v_dot4c_i32_i8_e32 v192, v187, v64
	v_mov_b32_e32 v194, 0
	v_dot4c_i32_i8_e32 v194, v188, v65
	v_fma_mix_f32 v39, v191, v197, v39 op_sel_hi:[0,1,0]
	v_cvt_f32_i32_e32 v192, v192
	v_cndmask_b32_e64 v197, 0, 1, s[22:23]
	v_cvt_f32_i32_e32 v194, v194
	v_cmp_ne_u32_e64 s[18:19], 1, v197
	v_fma_f32 v191, v12, v192, -v161
	v_mov_b32_e32 v192, 0
	v_fma_mix_f32 v39, v191, v196, v39 op_sel_hi:[0,1,0]
	v_fma_f32 v191, v12, v194, -v161
	v_dot4c_i32_i8_e32 v192, v189, v66
	v_mov_b32_e32 v194, 0
	v_dot4c_i32_i8_e32 v194, v190, v67
	v_fma_mix_f32 v39, v191, v196, v39 op_sel_hi:[0,1,0]
	v_cvt_f32_i32_e32 v192, v192
	v_fma_f32 v191, v14, v192, -v163
	v_cvt_f32_i32_e32 v194, v194
	v_fma_mix_f32 v39, v191, v199, v39 op_sel_hi:[0,1,0]
	v_cvt_f32_f16_e32 v192, v196
	v_fma_f32 v191, v14, v194, -v163
	v_fma_mix_f32 v39, v191, v199, v39 op_sel_hi:[0,1,0]
	ds_bpermute_b32 v191, v145, v39
	v_cvt_f32_f16_e32 v194, v210
	s_waitcnt lgkmcnt(0)
	v_add_f32_e32 v39, v39, v191
	ds_bpermute_b32 v196, v147, v39
	v_cvt_f32_f16_e32 v191, v199
	s_waitcnt lgkmcnt(0)
	v_add_f32_e32 v39, v39, v196
	s_cbranch_vccnz .LBB28_28
; %bb.27:                               ;   in Loop: Header=BB28_22 Depth=1
	global_load_ushort v196, v38, s[36:37] offset:2
	s_waitcnt vmcnt(0)
	v_fma_mix_f32 v39, v139, v196, v39 op_sel_hi:[0,1,0]
.LBB28_28:                              ;   in Loop: Header=BB28_22 Depth=1
	v_mov_b32_e32 v196, 0
	v_dot4c_i32_i8_e32 v196, v173, v68
	s_and_b64 vcc, exec, s[16:17]
	s_nop 1
	v_cvt_f32_i32_e32 v173, v196
	v_mov_b32_e32 v196, 0
	v_dot4c_i32_i8_e32 v196, v47, v69
	v_fma_f32 v173, v16, v173, -v165
	v_fma_f32 v173, v173, v41, 0
	s_nop 0
	v_cvt_f32_i32_e32 v47, v196
	v_mov_b32_e32 v196, 0
	v_dot4c_i32_i8_e32 v196, v45, v70
	v_fma_f32 v47, v16, v47, -v165
	v_fmac_f32_e32 v173, v47, v41
	s_nop 0
	v_cvt_f32_i32_e32 v45, v196
	v_mov_b32_e32 v196, 0
	v_dot4c_i32_i8_e32 v196, v44, v71
	v_fma_f32 v41, v18, v45, -v167
	v_fmac_f32_e32 v173, v41, v40
	s_nop 0
	v_cvt_f32_i32_e32 v44, v196
	v_fma_f32 v41, v18, v44, -v167
	v_mov_b32_e32 v44, 0
	v_dot4c_i32_i8_e32 v44, v43, v72
	v_fmac_f32_e32 v173, v41, v40
	v_mov_b32_e32 v41, 0
	v_dot4c_i32_i8_e32 v41, v172, v74
	v_cvt_f32_i32_e32 v43, v44
	v_mov_b32_e32 v44, 0
	v_dot4c_i32_i8_e32 v44, v46, v73
	v_cvt_f32_i32_e32 v41, v41
	v_fma_f32 v40, v20, v43, -v169
	v_fmac_f32_e32 v173, v40, v42
	v_cvt_f32_i32_e32 v44, v44
	v_mov_b32_e32 v43, 0
	v_dot4c_i32_i8_e32 v43, v34, v75
	v_fma_f32 v40, v20, v44, -v169
	v_fmac_f32_e32 v173, v40, v42
	v_fma_f32 v40, v22, v41, -v174
	v_fmac_f32_e32 v173, v40, v195
	v_mov_b32_e32 v40, 0
	v_dot4c_i32_i8_e32 v40, v35, v76
	v_cvt_f32_i32_e32 v34, v43
	v_fma_f32 v34, v22, v34, -v174
	s_nop 0
	v_cvt_f32_i32_e32 v35, v40
	v_mov_b32_e32 v40, 0
	v_dot4c_i32_i8_e32 v40, v184, v77
	v_fmac_f32_e32 v173, v34, v195
	v_fma_f32 v34, v24, v35, -v175
	v_mov_b32_e32 v35, 0
	v_cvt_f32_i32_e32 v40, v40
	v_fmac_f32_e32 v173, v34, v194
	v_dot4c_i32_i8_e32 v35, v185, v78
	v_fma_f32 v34, v24, v40, -v175
	v_mov_b32_e32 v40, 0
	s_nop 0
	v_cvt_f32_i32_e32 v35, v35
	v_dot4c_i32_i8_e32 v40, v186, v79
	v_fmac_f32_e32 v173, v34, v194
	v_fma_f32 v34, v26, v35, -v176
	s_nop 0
	v_cvt_f32_i32_e32 v40, v40
	v_mov_b32_e32 v35, 0
	v_fmac_f32_e32 v173, v34, v193
	v_dot4c_i32_i8_e32 v35, v187, v80
	v_fma_f32 v34, v26, v40, -v176
	v_mov_b32_e32 v40, 0
	v_dot4c_i32_i8_e32 v40, v188, v81
	v_cvt_f32_i32_e32 v35, v35
	v_fmac_f32_e32 v173, v34, v193
	v_fma_f32 v34, v28, v35, -v177
	v_cvt_f32_i32_e32 v40, v40
	v_mov_b32_e32 v35, 0
	v_fmac_f32_e32 v173, v34, v192
	v_dot4c_i32_i8_e32 v35, v189, v82
	v_fma_f32 v34, v28, v40, -v177
	v_mov_b32_e32 v40, 0
	v_dot4c_i32_i8_e32 v40, v190, v83
	v_cvt_f32_i32_e32 v35, v35
	v_fmac_f32_e32 v173, v34, v192
	v_fma_f32 v34, v30, v35, -v178
	v_cvt_f32_i32_e32 v40, v40
	v_fmac_f32_e32 v173, v34, v191
	v_fma_f32 v34, v30, v40, -v178
	v_fmac_f32_e32 v173, v34, v191
	ds_bpermute_b32 v34, v145, v173
	s_waitcnt lgkmcnt(0)
	v_add_f32_e32 v34, v173, v34
	ds_bpermute_b32 v35, v147, v34
	s_waitcnt lgkmcnt(0)
	v_add_f32_e32 v40, v34, v35
	s_cbranch_vccnz .LBB28_30
; %bb.29:                               ;   in Loop: Header=BB28_22 Depth=1
	v_mov_b32_e32 v35, s37
	v_add_co_u32_e32 v34, vcc, s36, v94
	v_addc_co_u32_e32 v35, vcc, v35, v95, vcc
	global_load_ushort v34, v[34:35], off offset:2
	s_waitcnt vmcnt(0)
	v_fma_mix_f32 v40, v139, v34, v40 op_sel_hi:[0,1,0]
.LBB28_30:                              ;   in Loop: Header=BB28_22 Depth=1
	v_mov_b32_e32 v35, s47
	v_add_co_u32_e32 v34, vcc, s39, v100
	v_addc_co_u32_e32 v35, vcc, v35, v5, vcc
	global_load_dword v42, v[34:35], off
	global_load_ushort v41, v[34:35], off offset:4
	global_load_dword v43, v[34:35], off offset:22
	global_load_ushort v172, v[34:35], off offset:26
	global_load_dword v44, v[34:35], off offset:44
	global_load_ushort v173, v[34:35], off offset:48
	v_add_co_u32_e32 v46, vcc, v34, v50
	v_addc_co_u32_e32 v47, vcc, 0, v35, vcc
	global_load_dword v184, v[46:47], off offset:6
	global_load_dword v185, v[46:47], off offset:28
	;; [unrolled: 1-line block ×4, first 2 shown]
	global_load_ushort v190, v[34:35], off offset:70
	global_load_dword v191, v[46:47], off offset:72
	global_load_dword v193, v[46:47], off offset:94
	;; [unrolled: 1-line block ×5, first 2 shown]
	s_and_b64 vcc, exec, s[18:19]
	s_waitcnt vmcnt(14)
	v_perm_b32 v41, v42, v41, s46
	v_ashrrev_i32_e32 v47, v50, v41
	s_waitcnt vmcnt(12)
	v_perm_b32 v46, v43, v172, s46
	v_ashrrev_i32_e32 v186, v50, v46
	v_ashrrev_i32_e32 v46, v143, v46
	v_lshlrev_b32_e32 v206, 4, v46
	v_lshlrev_b32_e32 v207, 11, v46
	v_lshlrev_b32_e32 v208, 18, v46
	v_lshlrev_b32_e32 v209, 25, v46
	global_load_dword v46, v[34:35], off offset:88
	global_load_ushort v210, v[34:35], off offset:92
	v_ashrrev_i32_e32 v41, v143, v41
	s_waitcnt vmcnt(11)
	v_and_b32_e32 v172, 0xf0f0f0f, v184
	v_lshrrev_b32_e32 v184, 4, v184
	v_lshlrev_b32_e32 v188, 4, v47
	v_lshlrev_b32_e32 v198, 11, v47
	;; [unrolled: 1-line block ×8, first 2 shown]
	v_and_b32_e32 v184, 0xf0f0f0f, v184
	v_and_b32_e32 v213, 16, v188
	;; [unrolled: 1-line block ×8, first 2 shown]
	v_or3_b32 v47, v47, v172, v188
	v_or3_b32 v41, v41, v184, v201
	global_load_dword v188, v[34:35], off offset:110
	global_load_ushort v201, v[34:35], off offset:114
	v_perm_b32 v173, v44, v173, s46
	v_lshlrev_b32_e32 v203, 4, v186
	v_lshlrev_b32_e32 v204, 11, v186
	;; [unrolled: 1-line block ×4, first 2 shown]
	s_waitcnt vmcnt(12)
	v_and_b32_e32 v187, 0xf0f0f0f, v185
	v_ashrrev_i32_e32 v192, v50, v173
	v_and_b32_e32 v198, 0x1000, v198
	v_and_b32_e32 v202, 16, v203
	;; [unrolled: 1-line block ×5, first 2 shown]
	v_lshrrev_b32_e32 v185, 4, v185
	v_or3_b32 v172, v186, v187, v204
	v_or3_b32 v187, v47, v213, v198
	;; [unrolled: 1-line block ×3, first 2 shown]
	v_lshlrev_b32_e32 v41, 18, v192
	v_lshlrev_b32_e32 v47, 25, v192
	s_waitcnt vmcnt(11)
	v_and_b32_e32 v196, 0xf0f0f0f, v189
	v_and_b32_e32 v185, 0xf0f0f0f, v185
	v_lshlrev_b32_e32 v211, 4, v192
	v_lshlrev_b32_e32 v212, 11, v192
	v_and_b32_e32 v205, 16, v206
	v_and_b32_e32 v206, 0x1000, v207
	;; [unrolled: 1-line block ×8, first 2 shown]
	v_or3_b32 v185, v208, v185, v207
	v_or3_b32 v41, v47, v196, v41
	v_ashrrev_i32_e32 v173, v143, v173
	v_or3_b32 v184, v172, v202, v203
	v_or3_b32 v172, v185, v205, v206
	;; [unrolled: 1-line block ×3, first 2 shown]
	v_lshrrev_b32_e32 v41, 4, v189
	v_lshlrev_b32_e32 v185, 4, v173
	v_lshlrev_b32_e32 v189, 11, v173
	;; [unrolled: 1-line block ×4, first 2 shown]
	v_and_b32_e32 v41, 0xf0f0f0f, v41
	v_and_b32_e32 v192, 0x100000, v192
	;; [unrolled: 1-line block ×5, first 2 shown]
	v_or3_b32 v41, v173, v41, v192
	global_load_dword v192, v[34:35], off offset:132
	global_load_ushort v198, v[34:35], off offset:136
	v_or3_b32 v173, v41, v185, v189
	s_waitcnt vmcnt(11)
	v_perm_b32 v41, v45, v190, s46
	v_ashrrev_i32_e32 v185, v50, v41
	v_lshlrev_b32_e32 v189, 4, v185
	v_lshlrev_b32_e32 v196, 11, v185
	;; [unrolled: 1-line block ×4, first 2 shown]
	s_waitcnt vmcnt(10)
	v_and_b32_e32 v190, 0xf0f0f0f, v191
	v_and_b32_e32 v199, 0x100000, v199
	;; [unrolled: 1-line block ×5, first 2 shown]
	v_or3_b32 v185, v185, v190, v199
	v_ashrrev_i32_e32 v41, v143, v41
	v_or3_b32 v185, v185, v189, v196
	v_lshrrev_b32_e32 v189, 4, v191
	v_lshlrev_b32_e32 v190, 4, v41
	v_lshlrev_b32_e32 v191, 11, v41
	;; [unrolled: 1-line block ×4, first 2 shown]
	v_and_b32_e32 v189, 0xf0f0f0f, v189
	v_and_b32_e32 v196, 0x100000, v196
	;; [unrolled: 1-line block ×3, first 2 shown]
	v_or3_b32 v41, v41, v189, v196
	global_load_dword v196, v[34:35], off offset:154
	global_load_ushort v199, v[34:35], off offset:158
	v_and_b32_e32 v190, 16, v190
	v_and_b32_e32 v191, 0x1000, v191
	v_or3_b32 v34, v41, v190, v191
	s_waitcnt vmcnt(6)
	v_perm_b32 v41, v46, v210, s46
	v_ashrrev_i32_e32 v35, v50, v41
	v_lshlrev_b32_e32 v189, 4, v35
	v_lshlrev_b32_e32 v191, 11, v35
	v_lshlrev_b32_e32 v200, 18, v35
	v_lshlrev_b32_e32 v35, 25, v35
	v_and_b32_e32 v190, 0xf0f0f0f, v193
	v_and_b32_e32 v200, 0x100000, v200
	v_and_b32_e32 v35, 0x10000000, v35
	v_and_b32_e32 v189, 16, v189
	v_and_b32_e32 v191, 0x1000, v191
	v_or3_b32 v35, v35, v190, v200
	v_ashrrev_i32_e32 v41, v143, v41
	v_or3_b32 v35, v35, v189, v191
	v_lshrrev_b32_e32 v189, 4, v193
	v_lshlrev_b32_e32 v190, 4, v41
	v_lshlrev_b32_e32 v191, 11, v41
	v_lshlrev_b32_e32 v193, 18, v41
	v_lshlrev_b32_e32 v41, 25, v41
	v_and_b32_e32 v189, 0xf0f0f0f, v189
	v_and_b32_e32 v193, 0x100000, v193
	v_and_b32_e32 v41, 0x10000000, v41
	v_and_b32_e32 v190, 16, v190
	v_and_b32_e32 v191, 0x1000, v191
	v_or3_b32 v41, v41, v189, v193
	v_or3_b32 v189, v41, v190, v191
	s_waitcnt vmcnt(4)
	v_perm_b32 v41, v188, v201, s46
	v_ashrrev_i32_e32 v190, v50, v41
	v_lshlrev_b32_e32 v191, 4, v190
	v_lshlrev_b32_e32 v200, 11, v190
	v_lshlrev_b32_e32 v201, 18, v190
	v_lshlrev_b32_e32 v190, 25, v190
	v_and_b32_e32 v193, 0xf0f0f0f, v194
	v_and_b32_e32 v201, 0x100000, v201
	v_and_b32_e32 v190, 0x10000000, v190
	v_and_b32_e32 v191, 16, v191
	v_and_b32_e32 v200, 0x1000, v200
	v_or3_b32 v190, v190, v193, v201
	v_ashrrev_i32_e32 v41, v143, v41
	v_or3_b32 v190, v190, v191, v200
	v_lshrrev_b32_e32 v191, 4, v194
	v_lshlrev_b32_e32 v193, 4, v41
	v_lshlrev_b32_e32 v194, 11, v41
	v_lshlrev_b32_e32 v200, 18, v41
	v_lshlrev_b32_e32 v41, 25, v41
	v_and_b32_e32 v191, 0xf0f0f0f, v191
	v_and_b32_e32 v200, 0x100000, v200
	v_and_b32_e32 v41, 0x10000000, v41
	v_and_b32_e32 v193, 16, v193
	v_and_b32_e32 v194, 0x1000, v194
	v_or3_b32 v41, v41, v191, v200
	;; [unrolled: 27-line block ×3, first 2 shown]
	v_or3_b32 v194, v41, v195, v198
	s_waitcnt vmcnt(0)
	v_perm_b32 v41, v196, v199, s46
	v_ashrrev_i32_e32 v195, v50, v41
	v_lshlrev_b32_e32 v198, 4, v195
	v_lshlrev_b32_e32 v200, 11, v195
	;; [unrolled: 1-line block ×4, first 2 shown]
	v_and_b32_e32 v199, 0xf0f0f0f, v197
	v_and_b32_e32 v201, 0x100000, v201
	;; [unrolled: 1-line block ×5, first 2 shown]
	v_or3_b32 v195, v195, v199, v201
	v_ashrrev_i32_e32 v41, v143, v41
	v_or3_b32 v195, v195, v198, v200
	v_lshrrev_b32_e32 v197, 4, v197
	v_lshlrev_b32_e32 v198, 4, v41
	v_lshlrev_b32_e32 v199, 11, v41
	;; [unrolled: 1-line block ×4, first 2 shown]
	v_and_b32_e32 v197, 0xf0f0f0f, v197
	v_and_b32_e32 v200, 0x100000, v200
	;; [unrolled: 1-line block ×3, first 2 shown]
	v_or3_b32 v41, v41, v197, v200
	v_mov_b32_e32 v197, 0
	v_dot4c_i32_i8_e32 v197, v187, v52
	v_and_b32_e32 v198, 16, v198
	v_and_b32_e32 v199, 0x1000, v199
	s_nop 0
	v_cvt_f32_i32_e32 v200, v197
	v_mov_b32_e32 v197, 0
	v_dot4c_i32_i8_e32 v197, v186, v53
	s_nop 2
	v_cvt_f32_i32_e32 v201, v197
	v_or3_b32 v197, v41, v198, v199
	v_mov_b32_e32 v199, 0
	v_fma_f32 v41, v0, v200, -v149
	v_dot4c_i32_i8_e32 v199, v184, v54
	v_mov_b32_e32 v200, 0
	v_dot4c_i32_i8_e32 v200, v172, v55
	v_fma_mix_f32 v41, v41, v42, 0 op_sel_hi:[0,1,0]
	v_cvt_f32_i32_e32 v199, v199
	v_fma_f32 v198, v0, v201, -v149
	v_cvt_f32_i32_e32 v200, v200
	v_fma_mix_f32 v41, v198, v42, v41 op_sel_hi:[0,1,0]
	v_fma_f32 v198, v2, v199, -v151
	v_mov_b32_e32 v199, 0
	v_fma_mix_f32 v41, v198, v43, v41 op_sel_hi:[0,1,0]
	v_fma_f32 v198, v2, v200, -v151
	v_dot4c_i32_i8_e32 v199, v47, v56
	v_mov_b32_e32 v200, 0
	v_dot4c_i32_i8_e32 v200, v173, v57
	v_fma_mix_f32 v41, v198, v43, v41 op_sel_hi:[0,1,0]
	v_cvt_f32_i32_e32 v199, v199
	v_fma_f32 v198, v4, v199, -v153
	v_cvt_f32_i32_e32 v200, v200
	v_mov_b32_e32 v199, 0
	v_fma_mix_f32 v41, v198, v44, v41 op_sel_hi:[0,1,0]
	v_dot4c_i32_i8_e32 v199, v185, v58
	v_fma_f32 v198, v4, v200, -v153
	v_mov_b32_e32 v200, 0
	v_dot4c_i32_i8_e32 v200, v34, v59
	v_cvt_f32_i32_e32 v199, v199
	v_fma_mix_f32 v41, v198, v44, v41 op_sel_hi:[0,1,0]
	v_fma_f32 v198, v6, v199, -v155
	v_cvt_f32_i32_e32 v200, v200
	v_mov_b32_e32 v199, 0
	v_fma_mix_f32 v41, v198, v45, v41 op_sel_hi:[0,1,0]
	v_dot4c_i32_i8_e32 v199, v35, v60
	v_fma_f32 v198, v6, v200, -v155
	v_mov_b32_e32 v200, 0
	v_dot4c_i32_i8_e32 v200, v189, v61
	v_cvt_f32_i32_e32 v199, v199
	v_fma_mix_f32 v41, v198, v45, v41 op_sel_hi:[0,1,0]
	;; [unrolled: 10-line block ×5, first 2 shown]
	v_fma_f32 v198, v14, v199, -v163
	v_cvt_f32_i32_e32 v200, v200
	v_fma_mix_f32 v41, v198, v196, v41 op_sel_hi:[0,1,0]
	v_fma_f32 v198, v14, v200, -v163
	v_fma_mix_f32 v41, v198, v196, v41 op_sel_hi:[0,1,0]
	ds_bpermute_b32 v198, v145, v41
	s_waitcnt lgkmcnt(0)
	v_add_f32_e32 v41, v41, v198
	ds_bpermute_b32 v198, v147, v41
	s_waitcnt lgkmcnt(0)
	v_add_f32_e32 v41, v41, v198
	s_cbranch_vccnz .LBB28_32
; %bb.31:                               ;   in Loop: Header=BB28_22 Depth=1
	global_load_ushort v198, v38, s[36:37] offset:4
	s_waitcnt vmcnt(0)
	v_fma_mix_f32 v41, v139, v198, v41 op_sel_hi:[0,1,0]
.LBB28_32:                              ;   in Loop: Header=BB28_22 Depth=1
	v_mov_b32_e32 v198, 0
	v_dot4c_i32_i8_e32 v198, v187, v68
	v_cvt_f32_f16_e32 v42, v42
	v_cvt_f32_f16_e32 v43, v43
	;; [unrolled: 1-line block ×3, first 2 shown]
	v_cvt_f32_i32_e32 v187, v198
	v_mov_b32_e32 v198, 0
	v_dot4c_i32_i8_e32 v198, v186, v69
	v_cvt_f32_f16_e32 v45, v45
	v_fma_f32 v187, v16, v187, -v165
	v_fma_f32 v187, v187, v42, 0
	v_cvt_f32_i32_e32 v186, v198
	v_mov_b32_e32 v198, 0
	v_dot4c_i32_i8_e32 v198, v184, v70
	v_cvt_f32_f16_e32 v46, v46
	v_fma_f32 v186, v16, v186, -v165
	v_fmac_f32_e32 v187, v186, v42
	v_cvt_f32_i32_e32 v184, v198
	v_mov_b32_e32 v198, 0
	v_dot4c_i32_i8_e32 v198, v172, v71
	v_cvt_f32_f16_e32 v188, v188
	v_fma_f32 v42, v18, v184, -v167
	v_fmac_f32_e32 v187, v42, v43
	v_cvt_f32_i32_e32 v172, v198
	v_cvt_f32_f16_e32 v192, v192
	v_cvt_f32_f16_e32 v196, v196
	s_and_b64 vcc, exec, s[16:17]
	v_fma_f32 v42, v18, v172, -v167
	v_mov_b32_e32 v172, 0
	v_dot4c_i32_i8_e32 v172, v47, v72
	v_fmac_f32_e32 v187, v42, v43
	v_mov_b32_e32 v43, 0
	v_dot4c_i32_i8_e32 v43, v185, v74
	v_cvt_f32_i32_e32 v47, v172
	v_mov_b32_e32 v172, 0
	v_dot4c_i32_i8_e32 v172, v173, v73
	v_cvt_f32_i32_e32 v43, v43
	v_fma_f32 v42, v20, v47, -v169
	v_fmac_f32_e32 v187, v42, v44
	v_cvt_f32_i32_e32 v172, v172
	v_mov_b32_e32 v47, 0
	v_dot4c_i32_i8_e32 v47, v34, v75
	v_fma_f32 v42, v20, v172, -v169
	v_fmac_f32_e32 v187, v42, v44
	v_fma_f32 v42, v22, v43, -v174
	v_fmac_f32_e32 v187, v42, v45
	v_mov_b32_e32 v42, 0
	v_dot4c_i32_i8_e32 v42, v35, v76
	v_cvt_f32_i32_e32 v34, v47
	v_fma_f32 v34, v22, v34, -v174
	s_nop 0
	v_cvt_f32_i32_e32 v35, v42
	v_mov_b32_e32 v42, 0
	v_dot4c_i32_i8_e32 v42, v189, v77
	v_fmac_f32_e32 v187, v34, v45
	v_fma_f32 v34, v24, v35, -v175
	v_mov_b32_e32 v35, 0
	v_cvt_f32_i32_e32 v42, v42
	v_fmac_f32_e32 v187, v34, v46
	v_dot4c_i32_i8_e32 v35, v190, v78
	v_fma_f32 v34, v24, v42, -v175
	v_mov_b32_e32 v42, 0
	s_nop 0
	v_cvt_f32_i32_e32 v35, v35
	v_dot4c_i32_i8_e32 v42, v191, v79
	v_fmac_f32_e32 v187, v34, v46
	v_fma_f32 v34, v26, v35, -v176
	s_nop 0
	v_cvt_f32_i32_e32 v42, v42
	v_mov_b32_e32 v35, 0
	v_fmac_f32_e32 v187, v34, v188
	v_dot4c_i32_i8_e32 v35, v193, v80
	v_fma_f32 v34, v26, v42, -v176
	v_mov_b32_e32 v42, 0
	v_dot4c_i32_i8_e32 v42, v194, v81
	v_cvt_f32_i32_e32 v35, v35
	v_fmac_f32_e32 v187, v34, v188
	v_fma_f32 v34, v28, v35, -v177
	v_cvt_f32_i32_e32 v42, v42
	v_mov_b32_e32 v35, 0
	v_fmac_f32_e32 v187, v34, v192
	v_dot4c_i32_i8_e32 v35, v195, v82
	v_fma_f32 v34, v28, v42, -v177
	v_mov_b32_e32 v42, 0
	v_dot4c_i32_i8_e32 v42, v197, v83
	v_cvt_f32_i32_e32 v35, v35
	v_fmac_f32_e32 v187, v34, v192
	v_fma_f32 v34, v30, v35, -v178
	v_cvt_f32_i32_e32 v42, v42
	v_fmac_f32_e32 v187, v34, v196
	v_fma_f32 v34, v30, v42, -v178
	v_fmac_f32_e32 v187, v34, v196
	ds_bpermute_b32 v34, v145, v187
	s_waitcnt lgkmcnt(0)
	v_add_f32_e32 v34, v187, v34
	ds_bpermute_b32 v35, v147, v34
	s_waitcnt lgkmcnt(0)
	v_add_f32_e32 v42, v34, v35
	s_cbranch_vccnz .LBB28_34
; %bb.33:                               ;   in Loop: Header=BB28_22 Depth=1
	v_mov_b32_e32 v35, s37
	v_add_co_u32_e32 v34, vcc, s36, v94
	v_addc_co_u32_e32 v35, vcc, v35, v95, vcc
	global_load_ushort v34, v[34:35], off offset:4
	s_waitcnt vmcnt(0)
	v_fma_mix_f32 v42, v139, v34, v42 op_sel_hi:[0,1,0]
.LBB28_34:                              ;   in Loop: Header=BB28_22 Depth=1
	v_mov_b32_e32 v35, s47
	v_add_co_u32_e32 v34, vcc, s39, v102
	v_addc_co_u32_e32 v35, vcc, v35, v7, vcc
	global_load_dword v43, v[34:35], off
	global_load_ushort v47, v[34:35], off offset:4
	global_load_dword v44, v[34:35], off offset:22
	global_load_ushort v184, v[34:35], off offset:26
	global_load_dword v45, v[34:35], off offset:44
	global_load_ushort v185, v[34:35], off offset:48
	v_add_co_u32_e32 v172, vcc, v34, v50
	v_addc_co_u32_e32 v173, vcc, 0, v35, vcc
	global_load_dword v186, v[172:173], off offset:6
	global_load_dword v187, v[172:173], off offset:28
	;; [unrolled: 1-line block ×4, first 2 shown]
	global_load_ushort v191, v[34:35], off offset:70
	global_load_dword v192, v[172:173], off offset:72
	global_load_dword v194, v[172:173], off offset:94
	global_load_dword v195, v[172:173], off offset:116
	global_load_dword v196, v[172:173], off offset:138
	global_load_dword v198, v[172:173], off offset:160
	s_and_b64 vcc, exec, s[18:19]
	s_waitcnt vmcnt(14)
	v_perm_b32 v47, v43, v47, s46
	v_ashrrev_i32_e32 v173, v50, v47
	v_ashrrev_i32_e32 v47, v143, v47
	v_lshlrev_b32_e32 v202, 4, v47
	v_lshlrev_b32_e32 v203, 11, v47
	;; [unrolled: 1-line block ×4, first 2 shown]
	global_load_dword v47, v[34:35], off offset:88
	global_load_ushort v212, v[34:35], off offset:92
	s_waitcnt vmcnt(14)
	v_perm_b32 v172, v44, v184, s46
	v_ashrrev_i32_e32 v188, v50, v172
	s_waitcnt vmcnt(12)
	v_perm_b32 v184, v45, v185, s46
	s_waitcnt vmcnt(11)
	v_and_b32_e32 v185, 0xf0f0f0f, v186
	v_lshrrev_b32_e32 v186, 4, v186
	v_lshlrev_b32_e32 v199, 4, v173
	v_lshlrev_b32_e32 v200, 11, v173
	;; [unrolled: 1-line block ×8, first 2 shown]
	s_waitcnt vmcnt(10)
	v_and_b32_e32 v189, 0xf0f0f0f, v187
	v_ashrrev_i32_e32 v172, v143, v172
	v_and_b32_e32 v186, 0xf0f0f0f, v186
	v_and_b32_e32 v201, 0x100000, v201
	v_and_b32_e32 v173, 0x10000000, v173
	v_and_b32_e32 v204, 0x100000, v204
	v_and_b32_e32 v205, 0x10000000, v205
	v_and_b32_e32 v208, 0x100000, v208
	v_and_b32_e32 v188, 0x10000000, v188
	v_lshrrev_b32_e32 v187, 4, v187
	v_lshlrev_b32_e32 v209, 4, v172
	v_lshlrev_b32_e32 v210, 11, v172
	;; [unrolled: 1-line block ×4, first 2 shown]
	v_or3_b32 v173, v173, v185, v201
	v_or3_b32 v185, v205, v186, v204
	;; [unrolled: 1-line block ×3, first 2 shown]
	global_load_dword v189, v[34:35], off offset:110
	global_load_ushort v201, v[34:35], off offset:114
	v_and_b32_e32 v187, 0xf0f0f0f, v187
	v_and_b32_e32 v211, 0x100000, v211
	;; [unrolled: 1-line block ×3, first 2 shown]
	v_ashrrev_i32_e32 v193, v50, v184
	v_and_b32_e32 v199, 16, v199
	v_and_b32_e32 v200, 0x1000, v200
	;; [unrolled: 1-line block ×8, first 2 shown]
	v_or3_b32 v172, v172, v187, v211
	v_or3_b32 v188, v173, v199, v200
	;; [unrolled: 1-line block ×5, first 2 shown]
	v_lshlrev_b32_e32 v172, 18, v193
	v_lshlrev_b32_e32 v186, 25, v193
	s_waitcnt vmcnt(11)
	v_and_b32_e32 v197, 0xf0f0f0f, v190
	v_and_b32_e32 v172, 0x100000, v172
	v_and_b32_e32 v186, 0x10000000, v186
	v_ashrrev_i32_e32 v184, v143, v184
	v_lshlrev_b32_e32 v213, 4, v193
	v_lshlrev_b32_e32 v214, 11, v193
	v_or3_b32 v172, v186, v197, v172
	v_lshrrev_b32_e32 v186, 4, v190
	v_lshlrev_b32_e32 v190, 4, v184
	v_lshlrev_b32_e32 v193, 11, v184
	;; [unrolled: 1-line block ×4, first 2 shown]
	v_and_b32_e32 v186, 0xf0f0f0f, v186
	v_and_b32_e32 v197, 0x100000, v197
	v_and_b32_e32 v184, 0x10000000, v184
	v_and_b32_e32 v190, 16, v190
	v_and_b32_e32 v193, 0x1000, v193
	v_or3_b32 v184, v184, v186, v197
	v_or3_b32 v184, v184, v190, v193
	global_load_dword v193, v[34:35], off offset:132
	global_load_ushort v199, v[34:35], off offset:136
	s_waitcnt vmcnt(11)
	v_perm_b32 v190, v46, v191, s46
	v_ashrrev_i32_e32 v186, v50, v190
	v_lshlrev_b32_e32 v191, 4, v186
	v_lshlrev_b32_e32 v200, 11, v186
	;; [unrolled: 1-line block ×4, first 2 shown]
	s_waitcnt vmcnt(10)
	v_and_b32_e32 v197, 0xf0f0f0f, v192
	v_and_b32_e32 v202, 0x100000, v202
	;; [unrolled: 1-line block ×3, first 2 shown]
	v_ashrrev_i32_e32 v190, v143, v190
	v_and_b32_e32 v191, 16, v191
	v_and_b32_e32 v200, 0x1000, v200
	v_or3_b32 v186, v186, v197, v202
	v_lshlrev_b32_e32 v197, 11, v190
	v_or3_b32 v186, v186, v191, v200
	v_lshrrev_b32_e32 v191, 4, v192
	v_lshlrev_b32_e32 v192, 4, v190
	v_and_b32_e32 v200, 0x1000, v197
	v_lshlrev_b32_e32 v197, 18, v190
	v_lshlrev_b32_e32 v190, 25, v190
	v_and_b32_e32 v191, 0xf0f0f0f, v191
	v_and_b32_e32 v197, 0x100000, v197
	;; [unrolled: 1-line block ×3, first 2 shown]
	v_or3_b32 v190, v190, v191, v197
	global_load_dword v197, v[34:35], off offset:154
	global_load_ushort v202, v[34:35], off offset:158
	v_and_b32_e32 v192, 16, v192
	v_or3_b32 v34, v190, v192, v200
	s_waitcnt vmcnt(6)
	v_perm_b32 v190, v47, v212, s46
	v_ashrrev_i32_e32 v35, v50, v190
	v_lshlrev_b32_e32 v191, 4, v35
	v_lshlrev_b32_e32 v200, 11, v35
	v_lshlrev_b32_e32 v203, 18, v35
	v_lshlrev_b32_e32 v35, 25, v35
	v_and_b32_e32 v192, 0xf0f0f0f, v194
	v_and_b32_e32 v203, 0x100000, v203
	v_and_b32_e32 v35, 0x10000000, v35
	v_and_b32_e32 v191, 16, v191
	v_and_b32_e32 v200, 0x1000, v200
	v_or3_b32 v35, v35, v192, v203
	v_ashrrev_i32_e32 v190, v143, v190
	v_or3_b32 v35, v35, v191, v200
	v_lshrrev_b32_e32 v191, 4, v194
	v_lshlrev_b32_e32 v192, 4, v190
	v_lshlrev_b32_e32 v194, 11, v190
	v_lshlrev_b32_e32 v200, 18, v190
	v_lshlrev_b32_e32 v190, 25, v190
	v_and_b32_e32 v191, 0xf0f0f0f, v191
	v_and_b32_e32 v200, 0x100000, v200
	v_and_b32_e32 v190, 0x10000000, v190
	v_and_b32_e32 v192, 16, v192
	v_and_b32_e32 v194, 0x1000, v194
	v_or3_b32 v190, v190, v191, v200
	v_or3_b32 v190, v190, v192, v194
	s_waitcnt vmcnt(4)
	v_perm_b32 v192, v189, v201, s46
	v_ashrrev_i32_e32 v191, v50, v192
	v_lshlrev_b32_e32 v194, 4, v191
	v_lshlrev_b32_e32 v201, 11, v191
	v_lshlrev_b32_e32 v203, 18, v191
	v_lshlrev_b32_e32 v191, 25, v191
	v_and_b32_e32 v200, 0xf0f0f0f, v195
	v_and_b32_e32 v203, 0x100000, v203
	v_and_b32_e32 v191, 0x10000000, v191
	v_and_b32_e32 v194, 16, v194
	v_and_b32_e32 v201, 0x1000, v201
	v_or3_b32 v191, v191, v200, v203
	v_ashrrev_i32_e32 v192, v143, v192
	v_or3_b32 v191, v191, v194, v201
	v_lshrrev_b32_e32 v194, 4, v195
	v_lshlrev_b32_e32 v195, 4, v192
	v_lshlrev_b32_e32 v200, 11, v192
	v_lshlrev_b32_e32 v201, 18, v192
	v_lshlrev_b32_e32 v192, 25, v192
	v_and_b32_e32 v194, 0xf0f0f0f, v194
	v_and_b32_e32 v201, 0x100000, v201
	v_and_b32_e32 v192, 0x10000000, v192
	v_and_b32_e32 v195, 16, v195
	v_and_b32_e32 v200, 0x1000, v200
	v_or3_b32 v192, v192, v194, v201
	;; [unrolled: 27-line block ×3, first 2 shown]
	v_or3_b32 v195, v195, v199, v200
	s_waitcnt vmcnt(0)
	v_perm_b32 v199, v197, v202, s46
	v_ashrrev_i32_e32 v196, v50, v199
	v_lshlrev_b32_e32 v200, 4, v196
	v_lshlrev_b32_e32 v202, 11, v196
	;; [unrolled: 1-line block ×4, first 2 shown]
	v_and_b32_e32 v201, 0xf0f0f0f, v198
	v_and_b32_e32 v203, 0x100000, v203
	v_and_b32_e32 v196, 0x10000000, v196
	v_and_b32_e32 v200, 16, v200
	v_and_b32_e32 v202, 0x1000, v202
	v_or3_b32 v196, v196, v201, v203
	v_ashrrev_i32_e32 v199, v143, v199
	v_or3_b32 v196, v196, v200, v202
	v_lshrrev_b32_e32 v198, 4, v198
	v_lshlrev_b32_e32 v200, 4, v199
	v_lshlrev_b32_e32 v201, 11, v199
	;; [unrolled: 1-line block ×4, first 2 shown]
	v_and_b32_e32 v198, 0xf0f0f0f, v198
	v_and_b32_e32 v202, 0x100000, v202
	;; [unrolled: 1-line block ×3, first 2 shown]
	v_or3_b32 v198, v199, v198, v202
	v_mov_b32_e32 v202, 0
	v_dot4c_i32_i8_e32 v202, v187, v53
	v_mov_b32_e32 v199, 0
	v_and_b32_e32 v200, 16, v200
	v_and_b32_e32 v201, 0x1000, v201
	v_cvt_f32_i32_e32 v202, v202
	v_dot4c_i32_i8_e32 v199, v188, v52
	v_or3_b32 v198, v198, v200, v201
	v_mov_b32_e32 v201, 0
	v_fma_f32 v200, v0, v202, -v149
	v_cvt_f32_i32_e32 v199, v199
	v_dot4c_i32_i8_e32 v201, v185, v54
	v_mov_b32_e32 v202, 0
	v_dot4c_i32_i8_e32 v202, v173, v55
	v_fma_f32 v199, v0, v199, -v149
	v_cvt_f32_i32_e32 v201, v201
	v_and_b32_e32 v213, 16, v213
	v_cvt_f32_i32_e32 v202, v202
	v_and_b32_e32 v214, 0x1000, v214
	v_fma_mix_f32 v199, v199, v43, 0 op_sel_hi:[0,1,0]
	v_or3_b32 v172, v172, v213, v214
	v_fma_mix_f32 v199, v200, v43, v199 op_sel_hi:[0,1,0]
	v_fma_f32 v200, v2, v201, -v151
	v_mov_b32_e32 v201, 0
	v_fma_mix_f32 v199, v200, v44, v199 op_sel_hi:[0,1,0]
	v_fma_f32 v200, v2, v202, -v151
	v_dot4c_i32_i8_e32 v201, v172, v56
	v_mov_b32_e32 v202, 0
	v_dot4c_i32_i8_e32 v202, v184, v57
	v_fma_mix_f32 v199, v200, v44, v199 op_sel_hi:[0,1,0]
	v_cvt_f32_i32_e32 v201, v201
	v_fma_f32 v200, v4, v201, -v153
	v_cvt_f32_i32_e32 v202, v202
	v_mov_b32_e32 v201, 0
	v_fma_mix_f32 v199, v200, v45, v199 op_sel_hi:[0,1,0]
	v_dot4c_i32_i8_e32 v201, v186, v58
	v_fma_f32 v200, v4, v202, -v153
	v_mov_b32_e32 v202, 0
	v_dot4c_i32_i8_e32 v202, v34, v59
	v_cvt_f32_i32_e32 v201, v201
	v_fma_mix_f32 v199, v200, v45, v199 op_sel_hi:[0,1,0]
	v_fma_f32 v200, v6, v201, -v155
	v_cvt_f32_i32_e32 v202, v202
	v_mov_b32_e32 v201, 0
	v_fma_mix_f32 v199, v200, v46, v199 op_sel_hi:[0,1,0]
	v_dot4c_i32_i8_e32 v201, v35, v60
	v_fma_f32 v200, v6, v202, -v155
	v_mov_b32_e32 v202, 0
	v_dot4c_i32_i8_e32 v202, v190, v61
	v_cvt_f32_i32_e32 v201, v201
	v_fma_mix_f32 v199, v200, v46, v199 op_sel_hi:[0,1,0]
	v_fma_f32 v200, v8, v201, -v157
	v_cvt_f32_i32_e32 v202, v202
	v_mov_b32_e32 v201, 0
	v_fma_mix_f32 v199, v200, v47, v199 op_sel_hi:[0,1,0]
	v_dot4c_i32_i8_e32 v201, v191, v62
	v_fma_f32 v200, v8, v202, -v157
	v_mov_b32_e32 v202, 0
	v_dot4c_i32_i8_e32 v202, v192, v63
	v_cvt_f32_i32_e32 v201, v201
	v_fma_mix_f32 v199, v200, v47, v199 op_sel_hi:[0,1,0]
	v_fma_f32 v200, v10, v201, -v159
	v_cvt_f32_i32_e32 v202, v202
	v_mov_b32_e32 v201, 0
	v_fma_mix_f32 v199, v200, v189, v199 op_sel_hi:[0,1,0]
	v_dot4c_i32_i8_e32 v201, v194, v64
	v_fma_f32 v200, v10, v202, -v159
	v_mov_b32_e32 v202, 0
	v_dot4c_i32_i8_e32 v202, v195, v65
	v_cvt_f32_i32_e32 v201, v201
	v_fma_mix_f32 v199, v200, v189, v199 op_sel_hi:[0,1,0]
	v_fma_f32 v200, v12, v201, -v161
	v_cvt_f32_i32_e32 v202, v202
	v_mov_b32_e32 v201, 0
	v_fma_mix_f32 v199, v200, v193, v199 op_sel_hi:[0,1,0]
	v_dot4c_i32_i8_e32 v201, v196, v66
	v_fma_f32 v200, v12, v202, -v161
	v_mov_b32_e32 v202, 0
	v_dot4c_i32_i8_e32 v202, v198, v67
	v_cvt_f32_i32_e32 v201, v201
	v_fma_mix_f32 v199, v200, v193, v199 op_sel_hi:[0,1,0]
	v_fma_f32 v200, v14, v201, -v163
	v_cvt_f32_i32_e32 v202, v202
	v_fma_mix_f32 v199, v200, v197, v199 op_sel_hi:[0,1,0]
	v_fma_f32 v200, v14, v202, -v163
	v_fma_mix_f32 v199, v200, v197, v199 op_sel_hi:[0,1,0]
	ds_bpermute_b32 v200, v145, v199
	s_waitcnt lgkmcnt(0)
	v_add_f32_e32 v199, v199, v200
	ds_bpermute_b32 v200, v147, v199
	s_waitcnt lgkmcnt(0)
	v_add_f32_e32 v199, v199, v200
	s_cbranch_vccnz .LBB28_36
; %bb.35:                               ;   in Loop: Header=BB28_22 Depth=1
	global_load_ushort v38, v38, s[36:37] offset:6
	s_waitcnt vmcnt(0)
	v_fma_mix_f32 v199, v139, v38, v199 op_sel_hi:[0,1,0]
.LBB28_36:                              ;   in Loop: Header=BB28_22 Depth=1
	v_cvt_f32_f16_e32 v38, v43
	v_cvt_f32_f16_e32 v43, v44
	;; [unrolled: 1-line block ×7, first 2 shown]
	v_mov_b32_e32 v193, 0
	v_dot4c_i32_i8_e32 v193, v188, v68
	s_and_b64 vcc, exec, s[16:17]
	s_nop 1
	v_cvt_f32_i32_e32 v188, v193
	v_mov_b32_e32 v193, 0
	v_dot4c_i32_i8_e32 v193, v187, v69
	v_fma_f32 v188, v16, v188, -v165
	v_fma_f32 v188, v188, v38, 0
	s_nop 0
	v_cvt_f32_i32_e32 v187, v193
	v_cvt_f32_f16_e32 v193, v197
	v_mov_b32_e32 v197, 0
	v_dot4c_i32_i8_e32 v197, v185, v70
	v_fma_f32 v187, v16, v187, -v165
	v_fmac_f32_e32 v188, v187, v38
	s_nop 0
	v_cvt_f32_i32_e32 v185, v197
	v_mov_b32_e32 v197, 0
	v_dot4c_i32_i8_e32 v197, v173, v71
	v_fma_f32 v38, v18, v185, -v167
	v_fmac_f32_e32 v188, v38, v43
	s_nop 0
	v_cvt_f32_i32_e32 v173, v197
	v_fma_f32 v38, v18, v173, -v167
	v_mov_b32_e32 v173, 0
	v_dot4c_i32_i8_e32 v173, v172, v72
	v_fmac_f32_e32 v188, v38, v43
	v_mov_b32_e32 v43, 0
	v_dot4c_i32_i8_e32 v43, v186, v74
	v_cvt_f32_i32_e32 v172, v173
	v_mov_b32_e32 v173, 0
	v_dot4c_i32_i8_e32 v173, v184, v73
	v_cvt_f32_i32_e32 v43, v43
	v_fma_f32 v38, v20, v172, -v169
	v_fmac_f32_e32 v188, v38, v44
	v_cvt_f32_i32_e32 v173, v173
	v_mov_b32_e32 v172, 0
	v_dot4c_i32_i8_e32 v172, v34, v75
	v_fma_f32 v38, v20, v173, -v169
	v_fmac_f32_e32 v188, v38, v44
	v_fma_f32 v38, v22, v43, -v174
	v_fmac_f32_e32 v188, v38, v45
	v_mov_b32_e32 v38, 0
	v_dot4c_i32_i8_e32 v38, v35, v76
	v_cvt_f32_i32_e32 v34, v172
	v_fma_f32 v34, v22, v34, -v174
	s_nop 0
	v_cvt_f32_i32_e32 v35, v38
	v_mov_b32_e32 v38, 0
	v_dot4c_i32_i8_e32 v38, v190, v77
	v_fmac_f32_e32 v188, v34, v45
	v_fma_f32 v34, v24, v35, -v175
	v_mov_b32_e32 v35, 0
	v_cvt_f32_i32_e32 v38, v38
	v_fmac_f32_e32 v188, v34, v46
	v_dot4c_i32_i8_e32 v35, v191, v78
	v_fma_f32 v34, v24, v38, -v175
	v_mov_b32_e32 v38, 0
	s_nop 0
	v_cvt_f32_i32_e32 v35, v35
	v_dot4c_i32_i8_e32 v38, v192, v79
	v_fmac_f32_e32 v188, v34, v46
	v_fma_f32 v34, v26, v35, -v176
	s_nop 0
	v_cvt_f32_i32_e32 v38, v38
	v_mov_b32_e32 v35, 0
	v_fmac_f32_e32 v188, v34, v47
	v_dot4c_i32_i8_e32 v35, v194, v80
	v_fma_f32 v34, v26, v38, -v176
	v_mov_b32_e32 v38, 0
	v_dot4c_i32_i8_e32 v38, v195, v81
	v_cvt_f32_i32_e32 v35, v35
	v_fmac_f32_e32 v188, v34, v47
	v_fma_f32 v34, v28, v35, -v177
	v_cvt_f32_i32_e32 v38, v38
	v_mov_b32_e32 v35, 0
	v_fmac_f32_e32 v188, v34, v189
	v_dot4c_i32_i8_e32 v35, v196, v82
	v_fma_f32 v34, v28, v38, -v177
	v_mov_b32_e32 v38, 0
	v_dot4c_i32_i8_e32 v38, v198, v83
	v_cvt_f32_i32_e32 v35, v35
	v_fmac_f32_e32 v188, v34, v189
	v_fma_f32 v34, v30, v35, -v178
	v_cvt_f32_i32_e32 v38, v38
	v_fmac_f32_e32 v188, v34, v193
	v_fma_f32 v34, v30, v38, -v178
	v_fmac_f32_e32 v188, v34, v193
	ds_bpermute_b32 v34, v145, v188
	s_waitcnt lgkmcnt(0)
	v_add_f32_e32 v34, v188, v34
	ds_bpermute_b32 v35, v147, v34
	s_waitcnt lgkmcnt(0)
	v_add_f32_e32 v34, v34, v35
	s_cbranch_vccnz .LBB28_21
; %bb.37:                               ;   in Loop: Header=BB28_22 Depth=1
	v_mov_b32_e32 v35, s37
	v_add_co_u32_e32 v44, vcc, s36, v94
	v_addc_co_u32_e32 v45, vcc, v35, v95, vcc
	global_load_ushort v35, v[44:45], off offset:6
	s_waitcnt vmcnt(0)
	v_fma_mix_f32 v34, v139, v35, v34 op_sel_hi:[0,1,0]
	s_branch .LBB28_21
.LBB28_38:
	s_cmp_eq_u64 s[24:25], 0
	s_cselect_b64 s[10:11], -1, 0
	s_cmp_lg_u32 s9, 0
	s_cselect_b64 s[12:13], -1, 0
	s_or_b64 s[10:11], s[12:13], s[10:11]
	s_or_b64 s[6:7], s[6:7], s[10:11]
	s_xor_b64 s[6:7], s[6:7], -1
	s_and_saveexec_b64 s[12:13], s[6:7]
	s_cbranch_execz .LBB28_40
; %bb.39:
	v_mov_b32_e32 v0, 0
	v_lshl_add_u32 v0, v129, 4, v0
	buffer_load_dword v1, v0, s[0:3], 0 offen
	buffer_load_dword v2, v0, s[0:3], 0 offen offset:4
	buffer_load_dword v3, v0, s[0:3], 0 offen offset:8
	buffer_load_dword v4, v0, s[0:3], 0 offen offset:12
	s_ashr_i32 s41, s40, 31
	s_lshl_b64 s[6:7], s[40:41], 2
	s_add_u32 s6, s24, s6
	s_addc_u32 s7, s25, s7
	s_load_dword s6, s[6:7], 0x0
	v_cmp_eq_u32_e32 vcc, 1, v129
	v_cndmask_b32_e32 v5, v172, v173, vcc
	v_max_f32_e32 v7, v5, v5
	s_mov_b32 s8, 0x3fb8aa3b
	s_waitcnt lgkmcnt(0)
	v_max_f32_e64 v9, s6, s6
	v_max_f32_e32 v7, v9, v7
	v_sub_f32_e32 v5, v5, v7
	v_sub_f32_e32 v9, s6, v7
	v_mul_f32_e32 v10, 0x3fb8aa3b, v5
	v_mul_f32_e32 v11, 0x3fb8aa3b, v9
	v_fma_f32 v12, v5, s8, -v10
	v_rndne_f32_e32 v13, v10
	v_fma_f32 v14, v9, s8, -v11
	v_rndne_f32_e32 v15, v11
	v_fmac_f32_e32 v12, 0x32a5705f, v5
	v_sub_f32_e32 v10, v10, v13
	v_fmac_f32_e32 v14, 0x32a5705f, v9
	v_sub_f32_e32 v11, v11, v15
	v_add_f32_e32 v10, v10, v12
	v_cvt_i32_f32_e32 v13, v13
	v_add_f32_e32 v11, v11, v14
	v_exp_f32_e32 v10, v10
	v_cvt_i32_f32_e32 v15, v15
	v_exp_f32_e32 v11, v11
	s_mov_b32 s14, 0xc2ce8ed0
	v_cmp_eq_u32_e64 s[6:7], 0, v129
	v_cndmask_b32_e32 v173, v173, v7, vcc
	v_cndmask_b32_e64 v172, v172, v7, s[6:7]
	v_ldexp_f32 v7, v10, v13
	v_cmp_ngt_f32_e64 s[10:11], s14, v5
	s_mov_b32 s15, 0x42b17218
	v_ldexp_f32 v10, v11, v15
	v_cndmask_b32_e64 v7, 0, v7, s[10:11]
	v_cmp_ngt_f32_e64 s[10:11], s14, v9
	v_mov_b32_e32 v6, 0x7f800000
	v_cndmask_b32_e64 v10, 0, v10, s[10:11]
	v_cmp_nlt_f32_e64 s[10:11], s15, v5
	v_cndmask_b32_e64 v5, v6, v7, s[10:11]
	v_cmp_nlt_f32_e64 s[10:11], s15, v9
	v_cvt_f16_f32_e32 v7, v5
	v_cndmask_b32_e64 v6, v6, v10, s[10:11]
	v_cmp_eq_u32_e64 s[10:11], 0, v127
	v_cndmask_b32_e32 v8, v48, v49, vcc
	v_cndmask_b32_e64 v6, 0, v6, s[10:11]
	v_fmac_f32_e32 v6, v8, v5
	v_cndmask_b32_e32 v49, v49, v6, vcc
	v_cndmask_b32_e64 v48, v48, v6, s[6:7]
	s_waitcnt vmcnt(3)
	v_pk_mul_f16 v1, v7, v1 op_sel_hi:[0,1]
	s_waitcnt vmcnt(2)
	v_pk_mul_f16 v2, v7, v2 op_sel_hi:[0,1]
	;; [unrolled: 2-line block ×4, first 2 shown]
	buffer_store_dword v1, v0, s[0:3], 0 offen
	buffer_store_dword v2, v0, s[0:3], 0 offen offset:4
	buffer_store_dword v3, v0, s[0:3], 0 offen offset:8
	;; [unrolled: 1-line block ×3, first 2 shown]
.LBB28_40:
	s_or_b64 exec, exec, s[12:13]
	v_cmp_eq_u32_e32 vcc, 0, v129
	s_and_saveexec_b64 s[6:7], vcc
	s_cbranch_execz .LBB28_42
; %bb.41:
	v_mov_b32_e32 v0, 0xfeffffff
	v_add_u32_e32 v2, 0x800, v137
	v_mov_b32_e32 v1, 0
	ds_write2_b32 v2, v0, v0 offset1:32
	ds_write2_b32 v2, v1, v1 offset0:64 offset1:96
.LBB28_42:
	s_or_b64 exec, exec, s[6:7]
	v_cmp_eq_u32_e64 s[6:7], 0, v127
	s_waitcnt lgkmcnt(0)
	s_barrier
	s_and_saveexec_b64 s[10:11], s[6:7]
	s_cbranch_execz .LBB28_44
; %bb.43:
	v_lshlrev_b32_e32 v0, 2, v129
	v_add_u32_e32 v0, 0x800, v0
	ds_write2_b32 v0, v172, v173 offset1:32
.LBB28_44:
	s_or_b64 exec, exec, s[10:11]
	s_cmp_lt_i32 s33, s34
	s_waitcnt lgkmcnt(0)
	s_barrier
	s_cbranch_scc1 .LBB28_46
; %bb.45:
	s_load_dword s12, s[4:5], 0xd4
	s_mul_i32 s8, s48, s34
	s_cbranch_execz .LBB28_47
	s_branch .LBB28_54
.LBB28_46:
                                        ; implicit-def: $sgpr12
	s_mul_i32 s8, s48, s34
.LBB28_47:
	v_mbcnt_hi_u32_b32 v0, -1, v141
	v_and_b32_e32 v1, 0x60, v0
	ds_read_b32 v4, v137 offset:2048
	v_add_u32_e32 v1, 32, v1
	v_xor_b32_e32 v2, 16, v0
	buffer_load_dword v9, off, s[0:3], 0
	buffer_load_dword v11, off, s[0:3], 0 offset:4
	buffer_load_dword v12, off, s[0:3], 0 offset:8
	;; [unrolled: 1-line block ×3, first 2 shown]
	v_cmp_lt_i32_e32 vcc, v2, v1
	v_cndmask_b32_e32 v2, v0, v2, vcc
	v_lshlrev_b32_e32 v2, 2, v2
	s_waitcnt lgkmcnt(0)
	ds_bpermute_b32 v5, v2, v4
	v_xor_b32_e32 v3, 8, v0
	v_cmp_lt_i32_e32 vcc, v3, v1
	v_cndmask_b32_e32 v3, v0, v3, vcc
	v_max_f32_e32 v4, v4, v4
	s_waitcnt lgkmcnt(0)
	v_max_f32_e32 v5, v5, v5
	v_lshlrev_b32_e32 v3, 2, v3
	v_max_f32_e32 v5, v4, v5
	ds_bpermute_b32 v7, v3, v5
	v_xor_b32_e32 v6, 4, v0
	v_cmp_lt_i32_e32 vcc, v6, v1
	v_cndmask_b32_e32 v4, v0, v6, vcc
	v_lshlrev_b32_e32 v4, 2, v4
	s_waitcnt lgkmcnt(0)
	v_max_f32_e32 v6, v7, v7
	v_max_f32_e32 v6, v5, v6
	ds_bpermute_b32 v7, v4, v6
	v_xor_b32_e32 v5, 2, v0
	v_cmp_lt_i32_e32 vcc, v5, v1
	v_cndmask_b32_e32 v5, v0, v5, vcc
	v_lshlrev_b32_e32 v5, 2, v5
	s_waitcnt lgkmcnt(0)
	v_max_f32_e32 v7, v7, v7
	v_max_f32_e32 v7, v6, v7
	ds_bpermute_b32 v8, v5, v7
	v_xor_b32_e32 v6, 1, v0
	v_cmp_lt_i32_e32 vcc, v6, v1
	v_cndmask_b32_e32 v0, v0, v6, vcc
	v_lshlrev_b32_e32 v6, 2, v0
	s_waitcnt lgkmcnt(0)
	v_max_f32_e32 v0, v8, v8
	v_max_f32_e32 v0, v7, v0
	ds_bpermute_b32 v1, v6, v0
	s_mov_b32 s10, 0x3fb8aa3b
	s_load_dword s12, s[4:5], 0xd4
	s_waitcnt lgkmcnt(0)
	v_max_f32_e32 v1, v1, v1
	v_max_f32_e32 v0, v0, v1
	v_sub_f32_e32 v1, v172, v0
	v_mul_f32_e32 v7, 0x3fb8aa3b, v1
	v_fma_f32 v8, v1, s10, -v7
	v_rndne_f32_e32 v10, v7
	v_fmac_f32_e32 v8, 0x32a5705f, v1
	v_sub_f32_e32 v7, v7, v10
	v_add_f32_e32 v7, v7, v8
	v_exp_f32_e32 v7, v7
	v_cvt_i32_f32_e32 v8, v10
	s_mov_b32 s10, 0xc2ce8ed0
	v_cmp_ngt_f32_e32 vcc, s10, v1
	s_mov_b32 s10, 0x42b17218
	v_ldexp_f32 v7, v7, v8
	v_cndmask_b32_e32 v7, 0, v7, vcc
	v_mov_b32_e32 v8, 0x7f800000
	v_cmp_nlt_f32_e32 vcc, s10, v1
	v_cndmask_b32_e32 v1, v8, v7, vcc
	v_mul_f32_e32 v7, v48, v1
	ds_bpermute_b32 v7, v2, v7
	v_cvt_f16_f32_e32 v14, v1
	s_waitcnt lgkmcnt(0)
	v_fmac_f32_e32 v7, v48, v1
	ds_bpermute_b32 v8, v3, v7
	s_waitcnt lgkmcnt(0)
	v_add_f32_e32 v7, v7, v8
	ds_bpermute_b32 v8, v4, v7
	s_waitcnt lgkmcnt(0)
	v_add_f32_e32 v8, v7, v8
	ds_bpermute_b32 v10, v5, v8
	v_lshlrev_b32_e32 v7, 3, v127
	v_add_u32_e32 v7, v131, v7
	s_waitcnt vmcnt(2)
	v_pk_mul_f16 v11, v14, v11 op_sel_hi:[0,1]
	s_waitcnt vmcnt(1)
	v_pk_mul_f16 v12, v14, v12 op_sel_hi:[0,1]
	s_waitcnt lgkmcnt(0)
	v_add_f32_e32 v1, v8, v10
	ds_bpermute_b32 v8, v6, v1
	v_pk_mul_f16 v10, v14, v9 op_sel_hi:[0,1]
	s_waitcnt vmcnt(0)
	v_pk_mul_f16 v13, v14, v13 op_sel_hi:[0,1]
	buffer_store_dword v10, off, s[0:3], 0
	buffer_store_dword v11, off, s[0:3], 0 offset:4
	buffer_store_dword v12, off, s[0:3], 0 offset:8
	;; [unrolled: 1-line block ×3, first 2 shown]
	ds_write2_b64 v7, v[10:11], v[12:13] offset1:32
	s_and_saveexec_b64 s[4:5], s[6:7]
	s_cbranch_execz .LBB28_49
; %bb.48:
	s_waitcnt lgkmcnt(1)
	v_add_f32_e32 v1, v1, v8
	v_lshlrev_b32_e32 v8, 2, v129
	ds_write_b32 v8, v1 offset:2304
.LBB28_49:
	s_or_b64 exec, exec, s[4:5]
	s_waitcnt lgkmcnt(0)
	s_barrier
	ds_read_b32 v1, v137 offset:2304
	ds_read_u16 v8, v135
	ds_read_u16 v10, v135 offset:1280
	ds_read_u16 v11, v135 offset:768
	;; [unrolled: 1-line block ×3, first 2 shown]
	s_waitcnt lgkmcnt(4)
	ds_bpermute_b32 v9, v2, v1
	ds_read_u16 v13, v135 offset:512
	ds_read_u16 v14, v135 offset:1024
	;; [unrolled: 1-line block ×3, first 2 shown]
	s_waitcnt lgkmcnt(7)
	v_cvt_f32_f16_e32 v8, v8
	s_waitcnt lgkmcnt(5)
	v_cvt_f32_f16_e32 v11, v11
	;; [unrolled: 2-line block ×3, first 2 shown]
	v_add_f32_e32 v1, v1, v9
	ds_bpermute_b32 v9, v3, v1
	s_waitcnt lgkmcnt(2)
	v_cvt_f32_f16_e32 v14, v14
	s_waitcnt lgkmcnt(1)
	v_cvt_f32_f16_e32 v15, v15
	v_add_f32_e32 v8, 0, v8
	v_add_f32_e32 v8, v8, v13
	s_waitcnt lgkmcnt(0)
	v_add_f32_e32 v1, v1, v9
	ds_bpermute_b32 v9, v4, v1
	v_add_f32_e32 v8, v8, v14
	v_add_f32_e32 v8, v8, v15
	v_cvt_f32_f16_e32 v12, v12
	s_cmp_eq_u32 s12, 1
	s_waitcnt lgkmcnt(0)
	v_add_f32_e32 v1, v1, v9
	ds_bpermute_b32 v9, v5, v1
	v_cvt_f32_f16_e32 v10, v10
	v_add_f32_e32 v12, 0, v12
	v_add_f32_e32 v11, v12, v11
	s_waitcnt lgkmcnt(0)
	v_add_f32_e32 v1, v1, v9
	ds_bpermute_b32 v9, v6, v1
	v_add_f32_e32 v10, v11, v10
	s_waitcnt lgkmcnt(0)
	v_add_f32_e32 v48, v1, v9
	v_div_scale_f32 v9, s[4:5], v48, v48, v8
	v_rcp_f32_e32 v13, v9
	v_div_scale_f32 v14, vcc, v8, v48, v8
	s_cselect_b64 s[4:5], -1, 0
	v_fma_f32 v15, -v9, v13, 1.0
	v_fmac_f32_e32 v13, v15, v13
	v_mul_f32_e32 v15, v14, v13
	v_fma_f32 v16, -v9, v15, v14
	v_fmac_f32_e32 v15, v16, v13
	v_fma_f32 v9, -v9, v15, v14
	ds_read_u16 v14, v135 offset:1792
	s_add_i32 s10, s8, s33
	s_mul_i32 s13, s10, s35
	s_add_i32 s13, s13, s40
	v_div_fmas_f32 v9, v9, v13, v15
	s_waitcnt lgkmcnt(0)
	v_cvt_f32_f16_e32 v14, v14
	s_mul_i32 s10, s12, s13
	v_div_fixup_f32 v9, v9, v48, v8
	s_add_i32 s10, s10, s9
	v_add_f32_e32 v10, v10, v14
	v_cndmask_b32_e64 v13, v8, v9, s[4:5]
	v_lshl_or_b32 v8, s10, 8, v133
	v_div_scale_f32 v11, s[10:11], v48, v48, v10
	v_mov_b32_e32 v9, 0
	v_rcp_f32_e32 v12, v11
	v_lshlrev_b64 v[8:9], 2, v[8:9]
	v_mov_b32_e32 v15, s29
	v_add_co_u32_e32 v8, vcc, s28, v8
	v_addc_co_u32_e32 v9, vcc, v15, v9, vcc
	global_store_dword v[8:9], v13, off
	v_fma_f32 v13, -v11, v12, 1.0
	v_fmac_f32_e32 v12, v13, v12
	v_div_scale_f32 v13, vcc, v10, v48, v10
	v_mul_f32_e32 v14, v13, v12
	v_fma_f32 v15, -v11, v14, v13
	v_fmac_f32_e32 v14, v15, v12
	v_fma_f32 v11, -v11, v14, v13
	v_div_fmas_f32 v11, v11, v12, v14
	v_div_fixup_f32 v11, v11, v48, v10
	s_or_b32 s10, s33, 1
	v_mov_b32_e32 v1, v173
	v_cndmask_b32_e64 v10, v10, v11, s[4:5]
	s_cmp_ge_i32 s10, s34
	global_store_dword v[8:9], v10, off offset:512
	s_barrier
	s_cbranch_scc1 .LBB28_53
; %bb.50:
	v_add_u32_e32 v1, 0x800, v137
	ds_read_b32 v1, v1 offset:128
	buffer_load_dword v11, off, s[0:3], 0 offset:16
	buffer_load_dword v13, off, s[0:3], 0 offset:20
	;; [unrolled: 1-line block ×4, first 2 shown]
	s_mov_b32 s10, 0x3fb8aa3b
	s_mov_b32 s11, 0x42b17218
	s_waitcnt lgkmcnt(0)
	ds_bpermute_b32 v8, v2, v1
	v_max_f32_e32 v1, v1, v1
	s_waitcnt lgkmcnt(0)
	v_max_f32_e32 v8, v8, v8
	v_max_f32_e32 v1, v1, v8
	ds_bpermute_b32 v8, v3, v1
	s_waitcnt lgkmcnt(0)
	v_max_f32_e32 v8, v8, v8
	v_max_f32_e32 v1, v1, v8
	ds_bpermute_b32 v8, v4, v1
	;; [unrolled: 4-line block ×4, first 2 shown]
	s_waitcnt lgkmcnt(0)
	v_max_f32_e32 v8, v8, v8
	v_max_f32_e32 v1, v1, v8
	v_sub_f32_e32 v8, v173, v1
	v_mul_f32_e32 v9, 0x3fb8aa3b, v8
	v_fma_f32 v10, v8, s10, -v9
	v_rndne_f32_e32 v12, v9
	v_fmac_f32_e32 v10, 0x32a5705f, v8
	v_sub_f32_e32 v9, v9, v12
	v_add_f32_e32 v9, v9, v10
	v_cvt_i32_f32_e32 v12, v12
	v_exp_f32_e32 v9, v9
	s_mov_b32 s10, 0xc2ce8ed0
	v_cmp_ngt_f32_e32 vcc, s10, v8
	v_mov_b32_e32 v10, 0x7f800000
	v_ldexp_f32 v9, v9, v12
	v_cndmask_b32_e32 v9, 0, v9, vcc
	v_cmp_nlt_f32_e32 vcc, s11, v8
	v_cndmask_b32_e32 v8, v10, v9, vcc
	v_mul_f32_e32 v9, v49, v8
	ds_bpermute_b32 v9, v2, v9
	v_cvt_f16_f32_e32 v16, v8
	s_waitcnt lgkmcnt(0)
	v_fmac_f32_e32 v9, v49, v8
	ds_bpermute_b32 v10, v3, v9
	v_add_u32_e32 v8, 0x900, v137
	s_waitcnt lgkmcnt(0)
	v_add_f32_e32 v9, v9, v10
	ds_bpermute_b32 v10, v4, v9
	s_waitcnt lgkmcnt(0)
	v_add_f32_e32 v9, v9, v10
	ds_bpermute_b32 v10, v5, v9
	s_waitcnt vmcnt(3)
	v_pk_mul_f16 v12, v16, v11 op_sel_hi:[0,1]
	s_waitcnt vmcnt(2)
	v_pk_mul_f16 v13, v16, v13 op_sel_hi:[0,1]
	s_waitcnt lgkmcnt(0)
	v_add_f32_e32 v9, v9, v10
	ds_bpermute_b32 v10, v6, v9
	s_waitcnt vmcnt(1)
	v_pk_mul_f16 v14, v16, v14 op_sel_hi:[0,1]
	s_waitcnt vmcnt(0)
	v_pk_mul_f16 v15, v16, v15 op_sel_hi:[0,1]
	buffer_store_dword v12, off, s[0:3], 0 offset:16
	buffer_store_dword v13, off, s[0:3], 0 offset:20
	;; [unrolled: 1-line block ×4, first 2 shown]
	ds_write2_b64 v7, v[12:13], v[14:15] offset1:32
	s_and_saveexec_b64 s[10:11], s[6:7]
	s_cbranch_execz .LBB28_52
; %bb.51:
	v_lshlrev_b32_e32 v7, 2, v129
	s_waitcnt lgkmcnt(1)
	v_add_f32_e32 v9, v9, v10
	ds_write_b32 v7, v9 offset:2432
.LBB28_52:
	s_or_b64 exec, exec, s[10:11]
	s_waitcnt lgkmcnt(0)
	s_barrier
	ds_read_b32 v7, v8 offset:128
	ds_read_u16 v8, v135
	ds_read_u16 v9, v135 offset:1280
	ds_read_u16 v10, v135 offset:768
	;; [unrolled: 1-line block ×3, first 2 shown]
	s_waitcnt lgkmcnt(4)
	ds_bpermute_b32 v2, v2, v7
	ds_read_u16 v12, v135 offset:512
	ds_read_u16 v13, v135 offset:1024
	;; [unrolled: 1-line block ×3, first 2 shown]
	s_add_i32 s13, s13, s35
	s_mul_i32 s6, s12, s13
	s_waitcnt lgkmcnt(3)
	v_add_f32_e32 v2, v7, v2
	ds_bpermute_b32 v7, v3, v2
	s_add_i32 s6, s6, s9
	v_mov_b32_e32 v3, 0
	v_mov_b32_e32 v15, s29
	v_cvt_f32_f16_e32 v9, v9
	s_waitcnt lgkmcnt(0)
	v_add_f32_e32 v7, v2, v7
	ds_bpermute_b32 v4, v4, v7
	v_lshl_or_b32 v2, s6, 8, v133
	v_lshlrev_b64 v[2:3], 2, v[2:3]
	v_add_co_u32_e32 v2, vcc, s28, v2
	s_waitcnt lgkmcnt(0)
	v_add_f32_e32 v4, v7, v4
	ds_bpermute_b32 v5, v5, v4
	v_cvt_f32_f16_e32 v7, v8
	v_cvt_f32_f16_e32 v8, v12
	;; [unrolled: 1-line block ×3, first 2 shown]
	v_addc_co_u32_e32 v3, vcc, v15, v3, vcc
	s_waitcnt lgkmcnt(0)
	v_add_f32_e32 v4, v4, v5
	ds_bpermute_b32 v5, v6, v4
	v_cvt_f32_f16_e32 v6, v14
	v_add_f32_e32 v7, 0, v7
	v_add_f32_e32 v7, v7, v8
	;; [unrolled: 1-line block ×3, first 2 shown]
	s_waitcnt lgkmcnt(0)
	v_add_f32_e32 v49, v4, v5
	v_add_f32_e32 v4, v7, v6
	v_div_scale_f32 v5, s[6:7], v49, v49, v4
	v_rcp_f32_e32 v6, v5
	v_fma_f32 v7, -v5, v6, 1.0
	v_fmac_f32_e32 v6, v7, v6
	v_div_scale_f32 v7, vcc, v4, v49, v4
	v_mul_f32_e32 v8, v7, v6
	v_fma_f32 v12, -v5, v8, v7
	v_fmac_f32_e32 v8, v12, v6
	v_fma_f32 v5, -v5, v8, v7
	ds_read_u16 v7, v135 offset:1792
	v_div_fmas_f32 v5, v5, v6, v8
	v_cvt_f32_f16_e32 v6, v11
	v_cvt_f32_f16_e32 v8, v10
	v_div_fixup_f32 v5, v5, v49, v4
	s_waitcnt lgkmcnt(0)
	v_cvt_f32_f16_e32 v7, v7
	v_add_f32_e32 v6, 0, v6
	v_add_f32_e32 v6, v6, v8
	;; [unrolled: 1-line block ×4, first 2 shown]
	v_div_scale_f32 v7, s[6:7], v49, v49, v6
	v_rcp_f32_e32 v8, v7
	v_cndmask_b32_e64 v4, v4, v5, s[4:5]
	global_store_dword v[2:3], v4, off
	v_fma_f32 v4, -v7, v8, 1.0
	v_fmac_f32_e32 v8, v4, v8
	v_div_scale_f32 v4, vcc, v6, v49, v6
	v_mul_f32_e32 v5, v4, v8
	v_fma_f32 v9, -v7, v5, v4
	v_fmac_f32_e32 v5, v9, v8
	v_fma_f32 v4, -v7, v5, v4
	v_div_fmas_f32 v4, v4, v8, v5
	v_div_fixup_f32 v4, v4, v49, v6
	v_cndmask_b32_e64 v4, v6, v4, s[4:5]
	global_store_dword v[2:3], v4, off offset:512
.LBB28_53:
	v_pk_mov_b32 v[172:173], v[0:1], v[0:1] op_sel:[0,1]
.LBB28_54:
	s_waitcnt lgkmcnt(0)
	s_cmp_lg_u32 s12, 1
	s_cselect_b64 s[4:5], -1, 0
	v_cmp_gt_u32_e32 vcc, 2, v133
	v_or_b32_e32 v0, s33, v127
	s_and_b64 s[4:5], vcc, s[4:5]
	v_cmp_gt_i32_e32 vcc, s34, v0
	s_and_b64 s[4:5], s[4:5], vcc
	s_and_saveexec_b64 s[6:7], s[4:5]
	s_cbranch_execz .LBB28_56
; %bb.55:
	v_add_u32_e32 v0, s8, v0
	v_mul_lo_u32 v0, v0, s35
	v_add_u32_e32 v0, s40, v0
	v_mul_lo_u32 v0, s12, v0
	v_add_u32_e32 v0, s9, v0
	v_mov_b32_e32 v1, 0
	v_cmp_eq_u32_e32 vcc, 1, v133
	v_lshlrev_b64 v[0:1], 3, v[0:1]
	v_cndmask_b32_e32 v2, v172, v173, vcc
	v_cndmask_b32_e32 v3, v48, v49, vcc
	v_mov_b32_e32 v4, s31
	v_add_co_u32_e32 v0, vcc, s30, v0
	v_addc_co_u32_e32 v1, vcc, v4, v1, vcc
	global_store_dwordx2 v[0:1], v[2:3], off
.LBB28_56:
	s_endpgm
	.section	.rodata,"a",@progbits
	.p2align	6, 0x0
	.amdhsa_kernel _ZL18flash_attn_ext_vecILi256ELi2EL9ggml_type6ELS0_8ELb0EEvPKcS2_S2_S2_S2_PKiPfP15HIP_vector_typeIfLj2EEffffjfiS6_IjLj3EEiiiiiiiiiiiliiliiiiil
		.amdhsa_group_segment_fixed_size 2560
		.amdhsa_private_segment_fixed_size 48
		.amdhsa_kernarg_size 464
		.amdhsa_user_sgpr_count 8
		.amdhsa_user_sgpr_private_segment_buffer 1
		.amdhsa_user_sgpr_dispatch_ptr 0
		.amdhsa_user_sgpr_queue_ptr 0
		.amdhsa_user_sgpr_kernarg_segment_ptr 1
		.amdhsa_user_sgpr_dispatch_id 0
		.amdhsa_user_sgpr_flat_scratch_init 1
		.amdhsa_user_sgpr_kernarg_preload_length 0
		.amdhsa_user_sgpr_kernarg_preload_offset 0
		.amdhsa_user_sgpr_private_segment_size 0
		.amdhsa_uses_dynamic_stack 0
		.amdhsa_system_sgpr_private_segment_wavefront_offset 1
		.amdhsa_system_sgpr_workgroup_id_x 1
		.amdhsa_system_sgpr_workgroup_id_y 1
		.amdhsa_system_sgpr_workgroup_id_z 1
		.amdhsa_system_sgpr_workgroup_info 0
		.amdhsa_system_vgpr_workitem_id 1
		.amdhsa_next_free_vgpr 217
		.amdhsa_next_free_sgpr 56
		.amdhsa_accum_offset 220
		.amdhsa_reserve_vcc 1
		.amdhsa_reserve_flat_scratch 0
		.amdhsa_float_round_mode_32 0
		.amdhsa_float_round_mode_16_64 0
		.amdhsa_float_denorm_mode_32 3
		.amdhsa_float_denorm_mode_16_64 3
		.amdhsa_dx10_clamp 1
		.amdhsa_ieee_mode 1
		.amdhsa_fp16_overflow 0
		.amdhsa_tg_split 0
		.amdhsa_exception_fp_ieee_invalid_op 0
		.amdhsa_exception_fp_denorm_src 0
		.amdhsa_exception_fp_ieee_div_zero 0
		.amdhsa_exception_fp_ieee_overflow 0
		.amdhsa_exception_fp_ieee_underflow 0
		.amdhsa_exception_fp_ieee_inexact 0
		.amdhsa_exception_int_div_zero 0
	.end_amdhsa_kernel
	.section	.text._ZL18flash_attn_ext_vecILi256ELi2EL9ggml_type6ELS0_8ELb0EEvPKcS2_S2_S2_S2_PKiPfP15HIP_vector_typeIfLj2EEffffjfiS6_IjLj3EEiiiiiiiiiiiliiliiiiil,"axG",@progbits,_ZL18flash_attn_ext_vecILi256ELi2EL9ggml_type6ELS0_8ELb0EEvPKcS2_S2_S2_S2_PKiPfP15HIP_vector_typeIfLj2EEffffjfiS6_IjLj3EEiiiiiiiiiiiliiliiiiil,comdat
.Lfunc_end28:
	.size	_ZL18flash_attn_ext_vecILi256ELi2EL9ggml_type6ELS0_8ELb0EEvPKcS2_S2_S2_S2_PKiPfP15HIP_vector_typeIfLj2EEffffjfiS6_IjLj3EEiiiiiiiiiiiliiliiiiil, .Lfunc_end28-_ZL18flash_attn_ext_vecILi256ELi2EL9ggml_type6ELS0_8ELb0EEvPKcS2_S2_S2_S2_PKiPfP15HIP_vector_typeIfLj2EEffffjfiS6_IjLj3EEiiiiiiiiiiiliiliiiiil
                                        ; -- End function
	.section	.AMDGPU.csdata,"",@progbits
; Kernel info:
; codeLenInByte = 29776
; NumSgprs: 60
; NumVgprs: 217
; NumAgprs: 0
; TotalNumVgprs: 217
; ScratchSize: 48
; MemoryBound: 0
; FloatMode: 240
; IeeeMode: 1
; LDSByteSize: 2560 bytes/workgroup (compile time only)
; SGPRBlocks: 7
; VGPRBlocks: 27
; NumSGPRsForWavesPerEU: 60
; NumVGPRsForWavesPerEU: 217
; AccumOffset: 220
; Occupancy: 2
; WaveLimiterHint : 0
; COMPUTE_PGM_RSRC2:SCRATCH_EN: 1
; COMPUTE_PGM_RSRC2:USER_SGPR: 8
; COMPUTE_PGM_RSRC2:TRAP_HANDLER: 0
; COMPUTE_PGM_RSRC2:TGID_X_EN: 1
; COMPUTE_PGM_RSRC2:TGID_Y_EN: 1
; COMPUTE_PGM_RSRC2:TGID_Z_EN: 1
; COMPUTE_PGM_RSRC2:TIDIG_COMP_CNT: 1
; COMPUTE_PGM_RSRC3_GFX90A:ACCUM_OFFSET: 54
; COMPUTE_PGM_RSRC3_GFX90A:TG_SPLIT: 0
	.section	.text._ZL33flash_attn_stream_k_fixup_uniformILi256ELi2ELi1EEvPfPK15HIP_vector_typeIfLj2EEiiiiiiS1_IjLj3EES5_S5_,"axG",@progbits,_ZL33flash_attn_stream_k_fixup_uniformILi256ELi2ELi1EEvPfPK15HIP_vector_typeIfLj2EEiiiiiiS1_IjLj3EES5_S5_,comdat
	.globl	_ZL33flash_attn_stream_k_fixup_uniformILi256ELi2ELi1EEvPfPK15HIP_vector_typeIfLj2EEiiiiiiS1_IjLj3EES5_S5_ ; -- Begin function _ZL33flash_attn_stream_k_fixup_uniformILi256ELi2ELi1EEvPfPK15HIP_vector_typeIfLj2EEiiiiiiS1_IjLj3EES5_S5_
	.p2align	8
	.type	_ZL33flash_attn_stream_k_fixup_uniformILi256ELi2ELi1EEvPfPK15HIP_vector_typeIfLj2EEiiiiiiS1_IjLj3EES5_S5_,@function
_ZL33flash_attn_stream_k_fixup_uniformILi256ELi2ELi1EEvPfPK15HIP_vector_typeIfLj2EEiiiiiiS1_IjLj3EES5_S5_: ; @_ZL33flash_attn_stream_k_fixup_uniformILi256ELi2ELi1EEvPfPK15HIP_vector_typeIfLj2EEiiiiiiS1_IjLj3EES5_S5_
; %bb.0:
	s_load_dwordx8 s[12:19], s[4:5], 0x1c
	s_load_dwordx2 s[10:11], s[4:5], 0x10
	s_load_dwordx4 s[0:3], s[4:5], 0x3c
	s_waitcnt lgkmcnt(0)
	s_mul_hi_u32 s9, s15, s6
	s_add_i32 s9, s6, s9
	s_lshr_b32 s9, s9, s16
	s_mul_i32 s15, s9, s17
	s_sub_i32 s15, s6, s15
	s_mul_hi_u32 s16, s15, s18
	s_add_i32 s16, s15, s16
	s_lshr_b32 s16, s16, s19
	s_mul_i32 s0, s16, s0
	s_sub_i32 s0, s15, s0
	;; [unrolled: 5-line block ×3, first 2 shown]
	s_lshl_b32 s0, s17, 1
	s_add_i32 s0, s0, s7
	s_cmp_lt_i32 s0, s10
	s_cselect_b64 s[0:1], -1, 0
	s_add_i32 s2, s15, s8
	s_cmp_lt_i32 s2, s13
	s_cselect_b64 s[2:3], -1, 0
	s_and_b64 s[0:1], s[0:1], s[2:3]
	s_andn2_b64 vcc, exec, s[0:1]
	s_cbranch_vccnz .LBB29_6
; %bb.1:
	s_load_dwordx4 s[0:3], s[4:5], 0x0
	s_mul_i32 s4, s9, s10
	s_add_i32 s4, s4, s7
	s_mul_i32 s4, s4, s11
	s_mul_i32 s16, s16, s13
	s_add_i32 s4, s4, s8
	s_add_i32 s4, s4, s16
	s_mul_i32 s5, s11, s17
	s_add_i32 s4, s4, s15
	s_lshl_b32 s5, s5, 9
	s_lshl_b32 s4, s4, 8
	s_add_i32 s5, s5, s4
	v_or_b32_e32 v2, s5, v0
	v_ashrrev_i32_e32 v3, 31, v2
	v_lshlrev_b64 v[2:3], 2, v[2:3]
	s_waitcnt lgkmcnt(0)
	v_mov_b32_e32 v1, s1
	v_add_co_u32_e32 v2, vcc, s0, v2
	v_addc_co_u32_e32 v3, vcc, v1, v3, vcc
	global_load_dword v8, v[2:3], off
	s_add_i32 s4, s7, s8
	s_mul_i32 s7, s6, s14
	s_add_i32 s5, s7, s14
	s_lshl_b32 s0, s5, 1
	s_add_i32 s0, s4, s0
	s_add_i32 s0, s0, -2
	s_ashr_i32 s1, s0, 31
	s_lshl_b64 s[0:1], s[0:1], 3
	s_add_u32 s0, s2, s0
	s_addc_u32 s1, s3, s1
	s_load_dword s10, s[0:1], 0x4
	s_add_i32 s8, s5, -2
	s_cmp_lt_i32 s8, s7
	s_cbranch_scc1 .LBB29_4
; %bb.2:
	s_lshl_b32 s8, s12, 3
	s_ashr_i32 s9, s8, 31
	s_lshl_b64 s[8:9], s[8:9], 2
	s_add_u32 s8, s2, s8
	s_addc_u32 s11, s3, s9
	s_add_i32 s6, s6, 1
	s_add_i32 s9, s5, -1
	s_mul_i32 s5, s14, s6
	s_load_dword s0, s[0:1], 0x0
	s_lshl_b32 s1, s4, 8
	s_lshl_b32 s6, s5, 9
	s_add_i32 s1, s1, s6
	v_or_b32_e32 v0, s1, v0
	s_lshl_b32 s1, s5, 1
	s_add_i32 s1, s4, s1
	s_lshl_b32 s4, s12, 1
	s_add_i32 s1, s1, s4
	v_add_u32_e32 v0, 0xfffffc00, v0
	s_add_i32 s4, s1, -4
	s_waitcnt lgkmcnt(0)
	v_mov_b32_e32 v7, s10
	v_mov_b32_e32 v6, s0
	;; [unrolled: 1-line block ×3, first 2 shown]
	s_mov_b32 s6, 0x3fb8aa3b
	s_mov_b32 s10, 0xc2ce8ed0
	;; [unrolled: 1-line block ×3, first 2 shown]
	v_mov_b32_e32 v5, 0x7f800000
	s_mov_b32 s12, 0xc1a00000
.LBB29_3:                               ; =>This Inner Loop Header: Depth=1
	v_ashrrev_i32_e32 v1, 31, v0
	v_lshlrev_b64 v[10:11], 2, v[0:1]
	v_add_co_u32_e32 v10, vcc, s8, v10
	v_addc_co_u32_e32 v11, vcc, v4, v11, vcc
	global_load_dword v1, v[10:11], off
	s_ashr_i32 s5, s4, 31
	s_lshl_b64 s[0:1], s[4:5], 3
	s_add_u32 s0, s2, s0
	s_addc_u32 s1, s3, s1
	s_load_dwordx2 s[14:15], s[0:1], 0x0
	s_waitcnt vmcnt(1)
	v_mov_b32_e32 v9, v8
	v_max_f32_e32 v8, v6, v6
	v_mov_b32_e32 v10, v7
	s_add_i32 s9, s9, -1
	s_waitcnt lgkmcnt(0)
	v_max_f32_e64 v7, s14, s14
	v_max_f32_e32 v7, v8, v7
	v_sub_f32_e32 v11, s14, v7
	v_sub_f32_e32 v8, v6, v7
	v_mul_f32_e32 v12, 0x3fb8aa3b, v11
	v_mov_b32_e32 v6, v7
	v_mul_f32_e32 v7, 0x3fb8aa3b, v8
	v_fma_f32 v15, v11, s6, -v12
	v_rndne_f32_e32 v16, v12
	v_fma_f32 v13, v8, s6, -v7
	v_rndne_f32_e32 v14, v7
	v_fmac_f32_e32 v15, 0x32a5705f, v11
	v_sub_f32_e32 v12, v12, v16
	v_fmac_f32_e32 v13, 0x32a5705f, v8
	v_sub_f32_e32 v7, v7, v14
	v_add_f32_e32 v12, v12, v15
	v_cvt_i32_f32_e32 v16, v16
	v_add_f32_e32 v7, v7, v13
	v_exp_f32_e32 v12, v12
	v_cvt_i32_f32_e32 v14, v14
	v_exp_f32_e32 v7, v7
	v_cmp_ngt_f32_e32 vcc, s10, v11
	v_ldexp_f32 v12, v12, v16
	v_cmp_ngt_f32_e64 s[0:1], s10, v8
	v_ldexp_f32 v7, v7, v14
	v_cndmask_b32_e32 v12, 0, v12, vcc
	v_cmp_nlt_f32_e32 vcc, s11, v11
	v_cndmask_b32_e64 v7, 0, v7, s[0:1]
	v_cmp_nlt_f32_e64 s[0:1], s11, v8
	v_cndmask_b32_e32 v12, v5, v12, vcc
	v_cmp_le_f32_e32 vcc, s12, v11
	v_cndmask_b32_e64 v7, v5, v7, s[0:1]
	v_cmp_le_f32_e64 s[0:1], s12, v8
	v_cndmask_b32_e32 v8, 0, v12, vcc
	s_add_i32 s4, s4, -2
	v_cndmask_b32_e64 v11, 0, v7, s[0:1]
	v_mul_f32_e32 v7, s15, v8
	v_add_u32_e32 v0, 0xfffffe00, v0
	s_cmp_le_i32 s9, s7
	v_fmac_f32_e32 v7, v10, v11
	s_waitcnt vmcnt(0)
	v_mul_f32_e32 v8, v1, v8
	v_fmac_f32_e32 v8, v9, v11
	s_cbranch_scc0 .LBB29_3
	s_branch .LBB29_5
.LBB29_4:
	s_waitcnt lgkmcnt(0)
	v_mov_b32_e32 v7, s10
.LBB29_5:
	s_waitcnt vmcnt(0)
	v_div_scale_f32 v0, s[0:1], v7, v7, v8
	v_rcp_f32_e32 v1, v0
	v_div_scale_f32 v4, vcc, v8, v7, v8
	v_fma_f32 v5, -v0, v1, 1.0
	v_fmac_f32_e32 v1, v5, v1
	v_mul_f32_e32 v5, v4, v1
	v_fma_f32 v6, -v0, v5, v4
	v_fmac_f32_e32 v5, v6, v1
	v_fma_f32 v0, -v0, v5, v4
	v_div_fmas_f32 v0, v0, v1, v5
	v_div_fixup_f32 v0, v0, v7, v8
	global_store_dword v[2:3], v0, off
.LBB29_6:
	s_endpgm
	.section	.rodata,"a",@progbits
	.p2align	6, 0x0
	.amdhsa_kernel _ZL33flash_attn_stream_k_fixup_uniformILi256ELi2ELi1EEvPfPK15HIP_vector_typeIfLj2EEiiiiiiS1_IjLj3EES5_S5_
		.amdhsa_group_segment_fixed_size 0
		.amdhsa_private_segment_fixed_size 0
		.amdhsa_kernarg_size 76
		.amdhsa_user_sgpr_count 6
		.amdhsa_user_sgpr_private_segment_buffer 1
		.amdhsa_user_sgpr_dispatch_ptr 0
		.amdhsa_user_sgpr_queue_ptr 0
		.amdhsa_user_sgpr_kernarg_segment_ptr 1
		.amdhsa_user_sgpr_dispatch_id 0
		.amdhsa_user_sgpr_flat_scratch_init 0
		.amdhsa_user_sgpr_kernarg_preload_length 0
		.amdhsa_user_sgpr_kernarg_preload_offset 0
		.amdhsa_user_sgpr_private_segment_size 0
		.amdhsa_uses_dynamic_stack 0
		.amdhsa_system_sgpr_private_segment_wavefront_offset 0
		.amdhsa_system_sgpr_workgroup_id_x 1
		.amdhsa_system_sgpr_workgroup_id_y 1
		.amdhsa_system_sgpr_workgroup_id_z 1
		.amdhsa_system_sgpr_workgroup_info 0
		.amdhsa_system_vgpr_workitem_id 0
		.amdhsa_next_free_vgpr 17
		.amdhsa_next_free_sgpr 20
		.amdhsa_accum_offset 20
		.amdhsa_reserve_vcc 1
		.amdhsa_reserve_flat_scratch 0
		.amdhsa_float_round_mode_32 0
		.amdhsa_float_round_mode_16_64 0
		.amdhsa_float_denorm_mode_32 3
		.amdhsa_float_denorm_mode_16_64 3
		.amdhsa_dx10_clamp 1
		.amdhsa_ieee_mode 1
		.amdhsa_fp16_overflow 0
		.amdhsa_tg_split 0
		.amdhsa_exception_fp_ieee_invalid_op 0
		.amdhsa_exception_fp_denorm_src 0
		.amdhsa_exception_fp_ieee_div_zero 0
		.amdhsa_exception_fp_ieee_overflow 0
		.amdhsa_exception_fp_ieee_underflow 0
		.amdhsa_exception_fp_ieee_inexact 0
		.amdhsa_exception_int_div_zero 0
	.end_amdhsa_kernel
	.section	.text._ZL33flash_attn_stream_k_fixup_uniformILi256ELi2ELi1EEvPfPK15HIP_vector_typeIfLj2EEiiiiiiS1_IjLj3EES5_S5_,"axG",@progbits,_ZL33flash_attn_stream_k_fixup_uniformILi256ELi2ELi1EEvPfPK15HIP_vector_typeIfLj2EEiiiiiiS1_IjLj3EES5_S5_,comdat
.Lfunc_end29:
	.size	_ZL33flash_attn_stream_k_fixup_uniformILi256ELi2ELi1EEvPfPK15HIP_vector_typeIfLj2EEiiiiiiS1_IjLj3EES5_S5_, .Lfunc_end29-_ZL33flash_attn_stream_k_fixup_uniformILi256ELi2ELi1EEvPfPK15HIP_vector_typeIfLj2EEiiiiiiS1_IjLj3EES5_S5_
                                        ; -- End function
	.section	.AMDGPU.csdata,"",@progbits
; Kernel info:
; codeLenInByte = 836
; NumSgprs: 24
; NumVgprs: 17
; NumAgprs: 0
; TotalNumVgprs: 17
; ScratchSize: 0
; MemoryBound: 0
; FloatMode: 240
; IeeeMode: 1
; LDSByteSize: 0 bytes/workgroup (compile time only)
; SGPRBlocks: 2
; VGPRBlocks: 2
; NumSGPRsForWavesPerEU: 24
; NumVGPRsForWavesPerEU: 17
; AccumOffset: 20
; Occupancy: 8
; WaveLimiterHint : 0
; COMPUTE_PGM_RSRC2:SCRATCH_EN: 0
; COMPUTE_PGM_RSRC2:USER_SGPR: 6
; COMPUTE_PGM_RSRC2:TRAP_HANDLER: 0
; COMPUTE_PGM_RSRC2:TGID_X_EN: 1
; COMPUTE_PGM_RSRC2:TGID_Y_EN: 1
; COMPUTE_PGM_RSRC2:TGID_Z_EN: 1
; COMPUTE_PGM_RSRC2:TIDIG_COMP_CNT: 0
; COMPUTE_PGM_RSRC3_GFX90A:ACCUM_OFFSET: 4
; COMPUTE_PGM_RSRC3_GFX90A:TG_SPLIT: 0
	.section	.text._ZL33flash_attn_stream_k_fixup_generalILi256ELi2ELi1EEvPfPK15HIP_vector_typeIfLj2EEiiiiS1_IjLj3EES5_S5_S5_,"axG",@progbits,_ZL33flash_attn_stream_k_fixup_generalILi256ELi2ELi1EEvPfPK15HIP_vector_typeIfLj2EEiiiiS1_IjLj3EES5_S5_S5_,comdat
	.globl	_ZL33flash_attn_stream_k_fixup_generalILi256ELi2ELi1EEvPfPK15HIP_vector_typeIfLj2EEiiiiS1_IjLj3EES5_S5_S5_ ; -- Begin function _ZL33flash_attn_stream_k_fixup_generalILi256ELi2ELi1EEvPfPK15HIP_vector_typeIfLj2EEiiiiS1_IjLj3EES5_S5_S5_
	.p2align	8
	.type	_ZL33flash_attn_stream_k_fixup_generalILi256ELi2ELi1EEvPfPK15HIP_vector_typeIfLj2EEiiiiS1_IjLj3EES5_S5_S5_,@function
_ZL33flash_attn_stream_k_fixup_generalILi256ELi2ELi1EEvPfPK15HIP_vector_typeIfLj2EEiiiiS1_IjLj3EES5_S5_S5_: ; @_ZL33flash_attn_stream_k_fixup_generalILi256ELi2ELi1EEvPfPK15HIP_vector_typeIfLj2EEiiiiS1_IjLj3EES5_S5_S5_
; %bb.0:
	s_load_dwordx4 s[12:15], s[4:5], 0x10
	s_load_dword s9, s[4:5], 0x50
	s_mov_b32 s2, 0
	s_waitcnt lgkmcnt(0)
	s_mul_hi_i32 s3, s15, s6
	s_cmp_lg_u64 s[2:3], 0
	s_mul_i32 s2, s15, s6
	s_cbranch_scc0 .LBB30_21
; %bb.1:
	v_cvt_f32_u32_e32 v1, s9
	v_cvt_f32_ubyte0_e32 v2, 0
	s_sub_u32 s10, 0, s9
	s_subb_u32 s11, 0, 0
	v_madmk_f32 v1, v2, 0x4f800000, v1
	v_rcp_f32_e32 v1, v1
	v_mul_f32_e32 v1, 0x5f7ffffc, v1
	v_mul_f32_e32 v2, 0x2f800000, v1
	v_trunc_f32_e32 v2, v2
	v_madmk_f32 v1, v2, 0xcf800000, v1
	v_cvt_u32_f32_e32 v2, v2
	v_cvt_u32_f32_e32 v1, v1
	v_readfirstlane_b32 s16, v2
	v_readfirstlane_b32 s17, v1
	s_mul_i32 s18, s10, s16
	s_mul_hi_u32 s20, s10, s17
	s_mul_i32 s19, s11, s17
	s_add_i32 s18, s20, s18
	s_add_i32 s18, s18, s19
	s_mul_i32 s21, s10, s17
	s_mul_hi_u32 s19, s17, s18
	s_mul_i32 s20, s17, s18
	s_mul_hi_u32 s17, s17, s21
	s_add_u32 s17, s17, s20
	s_addc_u32 s19, 0, s19
	s_mul_hi_u32 s22, s16, s21
	s_mul_i32 s21, s16, s21
	s_add_u32 s17, s17, s21
	s_mul_hi_u32 s20, s16, s18
	s_addc_u32 s17, s19, s22
	s_addc_u32 s19, s20, 0
	s_mul_i32 s18, s16, s18
	s_add_u32 s17, s17, s18
	s_addc_u32 s18, 0, s19
	v_add_co_u32_e32 v1, vcc, s17, v1
	s_cmp_lg_u64 vcc, 0
	s_addc_u32 s16, s16, s18
	v_readfirstlane_b32 s18, v1
	s_mul_i32 s17, s10, s16
	s_mul_hi_u32 s19, s10, s18
	s_add_i32 s17, s19, s17
	s_mul_i32 s11, s11, s18
	s_add_i32 s17, s17, s11
	s_mul_i32 s10, s10, s18
	s_mul_hi_u32 s19, s16, s10
	s_mul_i32 s20, s16, s10
	s_mul_i32 s22, s18, s17
	s_mul_hi_u32 s10, s18, s10
	s_mul_hi_u32 s21, s18, s17
	s_add_u32 s10, s10, s22
	s_addc_u32 s18, 0, s21
	s_add_u32 s10, s10, s20
	s_mul_hi_u32 s11, s16, s17
	s_addc_u32 s10, s18, s19
	s_addc_u32 s11, s11, 0
	s_mul_i32 s17, s16, s17
	s_add_u32 s10, s10, s17
	s_addc_u32 s11, 0, s11
	v_add_co_u32_e32 v1, vcc, s10, v1
	s_cmp_lg_u64 vcc, 0
	s_addc_u32 s18, s16, s11
	s_ashr_i32 s10, s3, 31
	s_add_u32 s16, s2, s10
	s_mov_b32 s11, s10
	s_addc_u32 s17, s3, s10
	s_xor_b64 s[16:17], s[16:17], s[10:11]
	v_readfirstlane_b32 s20, v1
	s_mul_i32 s19, s16, s18
	s_mul_hi_u32 s21, s16, s20
	s_mul_hi_u32 s3, s16, s18
	s_add_u32 s19, s21, s19
	s_addc_u32 s3, 0, s3
	s_mul_hi_u32 s22, s17, s20
	s_mul_i32 s20, s17, s20
	s_add_u32 s19, s19, s20
	s_mul_hi_u32 s21, s17, s18
	s_addc_u32 s3, s3, s22
	s_addc_u32 s19, s21, 0
	s_mul_i32 s18, s17, s18
	s_add_u32 s3, s3, s18
	s_addc_u32 s18, 0, s19
	s_add_u32 s19, s3, 1
	s_addc_u32 s20, s18, 0
	s_add_u32 s21, s3, 2
	s_mul_i32 s23, s9, s18
	s_mul_hi_u32 s24, s9, s3
	s_addc_u32 s22, s18, 0
	s_add_i32 s24, s24, s23
	s_mul_i32 s23, s9, s3
	v_mov_b32_e32 v1, s23
	v_sub_co_u32_e32 v1, vcc, s16, v1
	s_cmp_lg_u64 vcc, 0
	s_subb_u32 s16, s17, s24
	v_subrev_co_u32_e32 v2, vcc, s9, v1
	s_cmp_lg_u64 vcc, 0
	s_subb_u32 s17, s16, 0
	v_readfirstlane_b32 s23, v2
	s_cmp_ge_u32 s23, s9
	s_cselect_b32 s23, -1, 0
	s_cmp_eq_u32 s17, 0
	s_cselect_b32 s17, s23, -1
	s_cmp_lg_u32 s17, 0
	s_cselect_b32 s17, s22, s20
	v_readfirstlane_b32 s20, v1
	s_cselect_b32 s19, s21, s19
	s_cmp_ge_u32 s20, s9
	s_cselect_b32 s20, -1, 0
	s_cmp_eq_u32 s16, 0
	s_cselect_b32 s16, s20, -1
	s_cmp_lg_u32 s16, 0
	s_cselect_b32 s17, s17, s18
	s_cselect_b32 s16, s19, s3
	s_xor_b64 s[16:17], s[16:17], s[10:11]
	s_sub_u32 s20, s16, s10
	s_load_dwordx4 s[16:19], s[4:5], 0x44
	s_cbranch_execnz .LBB30_3
.LBB30_2:
	v_cvt_f32_u32_e32 v1, s9
	s_sub_i32 s0, 0, s9
	v_rcp_iflag_f32_e32 v1, v1
	v_mul_f32_e32 v1, 0x4f7ffffe, v1
	v_cvt_u32_f32_e32 v1, v1
	v_readfirstlane_b32 s1, v1
	s_mul_i32 s0, s0, s1
	s_mul_hi_u32 s0, s1, s0
	s_add_i32 s1, s1, s0
	s_mul_hi_u32 s0, s2, s1
	s_mul_i32 s3, s0, s9
	s_sub_i32 s2, s2, s3
	s_add_i32 s1, s0, 1
	s_sub_i32 s3, s2, s9
	s_cmp_ge_u32 s2, s9
	s_cselect_b32 s0, s1, s0
	s_cselect_b32 s2, s3, s2
	s_add_i32 s1, s0, 1
	s_cmp_ge_u32 s2, s9
	s_cselect_b32 s20, s1, s0
.LBB30_3:
	s_add_i32 s0, s6, 1
	s_mul_hi_i32 s3, s15, s0
	s_mov_b32 s2, 0
	s_cmp_lg_u64 s[2:3], 0
	s_mul_i32 s2, s15, s0
	s_cbranch_scc0 .LBB30_22
; %bb.4:
	v_cvt_f32_u32_e32 v1, s9
	v_cvt_f32_ubyte0_e32 v2, 0
	s_sub_u32 s10, 0, s9
	s_subb_u32 s11, 0, 0
	v_madmk_f32 v1, v2, 0x4f800000, v1
	v_rcp_f32_e32 v1, v1
	v_mul_f32_e32 v1, 0x5f7ffffc, v1
	v_mul_f32_e32 v2, 0x2f800000, v1
	v_trunc_f32_e32 v2, v2
	v_madmk_f32 v1, v2, 0xcf800000, v1
	v_cvt_u32_f32_e32 v2, v2
	v_cvt_u32_f32_e32 v1, v1
	s_waitcnt lgkmcnt(0)
	v_readfirstlane_b32 s19, v2
	v_readfirstlane_b32 s21, v1
	s_mul_i32 s22, s10, s19
	s_mul_hi_u32 s24, s10, s21
	s_mul_i32 s23, s11, s21
	s_add_i32 s22, s24, s22
	s_add_i32 s22, s22, s23
	s_mul_i32 s25, s10, s21
	s_mul_hi_u32 s23, s21, s22
	s_mul_i32 s24, s21, s22
	s_mul_hi_u32 s21, s21, s25
	s_add_u32 s21, s21, s24
	s_addc_u32 s23, 0, s23
	s_mul_hi_u32 s26, s19, s25
	s_mul_i32 s25, s19, s25
	s_add_u32 s21, s21, s25
	s_mul_hi_u32 s24, s19, s22
	s_addc_u32 s21, s23, s26
	s_addc_u32 s23, s24, 0
	s_mul_i32 s22, s19, s22
	s_add_u32 s21, s21, s22
	s_addc_u32 s22, 0, s23
	v_add_co_u32_e32 v1, vcc, s21, v1
	s_cmp_lg_u64 vcc, 0
	s_addc_u32 s19, s19, s22
	v_readfirstlane_b32 s22, v1
	s_mul_i32 s21, s10, s19
	s_mul_hi_u32 s23, s10, s22
	s_add_i32 s21, s23, s21
	s_mul_i32 s11, s11, s22
	s_add_i32 s21, s21, s11
	s_mul_i32 s10, s10, s22
	s_mul_hi_u32 s23, s19, s10
	s_mul_i32 s24, s19, s10
	s_mul_i32 s26, s22, s21
	s_mul_hi_u32 s10, s22, s10
	s_mul_hi_u32 s25, s22, s21
	s_add_u32 s10, s10, s26
	s_addc_u32 s22, 0, s25
	s_add_u32 s10, s10, s24
	s_mul_hi_u32 s11, s19, s21
	s_addc_u32 s10, s22, s23
	s_addc_u32 s11, s11, 0
	s_mul_i32 s21, s19, s21
	s_add_u32 s10, s10, s21
	s_addc_u32 s11, 0, s11
	v_add_co_u32_e32 v1, vcc, s10, v1
	s_cmp_lg_u64 vcc, 0
	s_addc_u32 s19, s19, s11
	s_ashr_i32 s10, s3, 31
	s_add_u32 s22, s2, s10
	s_mov_b32 s11, s10
	s_addc_u32 s23, s3, s10
	s_xor_b64 s[22:23], s[22:23], s[10:11]
	v_readfirstlane_b32 s21, v1
	s_mul_i32 s11, s22, s19
	s_mul_hi_u32 s24, s22, s21
	s_mul_hi_u32 s3, s22, s19
	s_add_u32 s11, s24, s11
	s_addc_u32 s3, 0, s3
	s_mul_hi_u32 s25, s23, s21
	s_mul_i32 s21, s23, s21
	s_add_u32 s11, s11, s21
	s_mul_hi_u32 s24, s23, s19
	s_addc_u32 s3, s3, s25
	s_addc_u32 s11, s24, 0
	s_mul_i32 s19, s23, s19
	s_add_u32 s3, s3, s19
	s_addc_u32 s11, 0, s11
	s_mul_i32 s11, s9, s11
	s_mul_hi_u32 s24, s9, s3
	s_add_i32 s24, s24, s11
	s_mul_i32 s11, s9, s3
	v_mov_b32_e32 v1, s11
	s_add_u32 s19, s3, 1
	s_add_u32 s21, s3, 2
	v_sub_co_u32_e32 v1, vcc, s22, v1
	s_cmp_lg_u64 vcc, 0
	s_subb_u32 s11, s23, s24
	v_subrev_co_u32_e32 v2, vcc, s9, v1
	s_cmp_lg_u64 vcc, 0
	s_subb_u32 s22, s11, 0
	v_cmp_le_u32_e32 vcc, s9, v2
	s_cmp_eq_u32 s22, 0
	v_cndmask_b32_e64 v2, 0, -1, vcc
	s_cselect_b64 vcc, -1, 0
	v_cndmask_b32_e32 v2, -1, v2, vcc
	v_mov_b32_e32 v3, s19
	v_mov_b32_e32 v4, s21
	v_cmp_ne_u32_e32 vcc, 0, v2
	v_cndmask_b32_e32 v2, v3, v4, vcc
	v_cmp_le_u32_e32 vcc, s9, v1
	s_cmp_eq_u32 s11, 0
	v_cndmask_b32_e64 v1, 0, -1, vcc
	s_cselect_b64 vcc, -1, 0
	v_cndmask_b32_e32 v1, -1, v1, vcc
	v_mov_b32_e32 v3, s3
	v_cmp_ne_u32_e32 vcc, 0, v1
	v_cndmask_b32_e32 v1, v3, v2, vcc
	v_xor_b32_e32 v1, s10, v1
	v_subrev_co_u32_e32 v2, vcc, s10, v1
	s_cbranch_execnz .LBB30_6
.LBB30_5:
	v_cvt_f32_u32_e32 v1, s9
	s_sub_i32 s0, 0, s9
	s_mov_b32 s1, 0
	v_rcp_iflag_f32_e32 v1, v1
	v_mul_f32_e32 v1, 0x4f7ffffe, v1
	v_cvt_u32_f32_e32 v1, v1
	v_readfirstlane_b32 s3, v1
	s_mul_i32 s0, s0, s3
	s_mul_hi_u32 s0, s3, s0
	s_add_i32 s3, s3, s0
	s_mul_hi_u32 s0, s2, s3
	s_mul_i32 s10, s0, s9
	s_sub_i32 s2, s2, s10
	s_add_i32 s3, s0, 1
	s_sub_i32 s10, s2, s9
	s_cmp_ge_u32 s2, s9
	s_cselect_b32 s0, s3, s0
	s_cselect_b32 s2, s10, s2
	s_add_i32 s3, s0, 1
	s_cmp_ge_u32 s2, s9
	s_cselect_b32 s0, s3, s0
	v_pk_mov_b32 v[2:3], s[0:1], s[0:1] op_sel:[0,1]
.LBB30_6:
	s_waitcnt lgkmcnt(0)
	s_mul_hi_u32 s0, s20, s16
	s_add_i32 s0, s0, s20
	v_mul_hi_u32 v1, v2, s16
	s_lshr_b32 s19, s0, s17
	v_add_u32_e32 v1, v1, v2
	s_mul_i32 s0, s19, s18
	v_lshrrev_b32_e32 v1, s17, v1
	s_cmp_eq_u32 s0, s20
	v_cmp_eq_u32_e64 s[0:1], s19, v1
	v_mul_lo_u32 v1, v1, s18
	v_cmp_eq_u32_e32 vcc, s20, v2
	s_cselect_b64 s[10:11], -1, 0
	v_cmp_ne_u32_e64 s[2:3], v1, v2
	s_and_b64 s[0:1], s[0:1], s[2:3]
	s_or_b64 s[2:3], vcc, s[10:11]
	s_or_b64 s[0:1], s[2:3], s[0:1]
	s_and_b64 vcc, exec, s[0:1]
	s_cbranch_vccnz .LBB30_24
; %bb.7:
	s_load_dwordx8 s[24:31], s[4:5], 0x20
	s_load_dword s0, s[4:5], 0x40
	s_mov_b32 s10, 0
	s_waitcnt lgkmcnt(0)
	s_mul_hi_u32 s1, s20, s24
	s_add_i32 s1, s1, s20
	s_lshr_b32 s11, s1, s25
	s_mul_i32 s1, s11, s26
	s_sub_i32 s1, s20, s1
	s_mul_hi_u32 s2, s1, s27
	s_add_i32 s2, s1, s2
	s_lshr_b32 s25, s2, s28
	s_mul_i32 s2, s25, s29
	s_sub_i32 s1, s1, s2
	;; [unrolled: 5-line block ×3, first 2 shown]
	s_mul_hi_u32 s1, s0, s16
	s_add_i32 s0, s0, s1
	s_lshr_b32 s26, s0, s17
	s_lshl_b32 s0, s26, 1
	s_add_i32 s0, s0, s7
	s_cmp_lt_i32 s0, s12
	s_cselect_b64 s[0:1], -1, 0
	s_add_i32 s2, s24, s8
	s_cmp_lt_i32 s2, s14
	s_cselect_b64 s[2:3], -1, 0
	s_and_b64 s[0:1], s[0:1], s[2:3]
	s_andn2_b64 vcc, exec, s[0:1]
	s_cbranch_vccnz .LBB30_24
; %bb.8:
	s_load_dwordx4 s[0:3], s[4:5], 0x0
	s_lshl_b32 s4, s9, 3
	s_mov_b32 s5, s10
	s_add_i32 s21, s7, s8
	s_lshl_b64 s[4:5], s[4:5], 2
	s_waitcnt lgkmcnt(0)
	s_add_u32 s22, s2, s4
	s_mul_i32 s4, s11, s12
	s_addc_u32 s23, s3, s5
	s_add_i32 s4, s4, s7
	s_mul_i32 s4, s4, s13
	s_mul_i32 s25, s25, s14
	s_add_i32 s4, s4, s8
	s_add_i32 s4, s4, s25
	s_mul_i32 s5, s13, s26
	s_add_i32 s4, s4, s24
	s_lshl_b32 s5, s5, 9
	s_lshl_b32 s4, s4, 8
	s_add_i32 s5, s5, s4
	v_or_b32_e32 v2, s5, v0
	v_ashrrev_i32_e32 v3, 31, v2
	v_lshlrev_b64 v[2:3], 2, v[2:3]
	v_mov_b32_e32 v1, s1
	v_add_co_u32_e32 v2, vcc, s0, v2
	v_addc_co_u32_e32 v3, vcc, v1, v3, vcc
	global_load_dword v5, v[2:3], off
	v_lshl_or_b32 v4, s21, 8, v0
	v_cvt_f32_u32_e32 v0, s9
	v_cvt_f32_ubyte0_e32 v1, 0
	s_lshl_b32 s0, s6, 1
	s_add_i32 s0, s0, s21
	v_mac_f32_e32 v0, 0x4f800000, v1
	v_rcp_f32_e32 v0, v0
	v_cvt_f32_u32_e32 v1, s9
	s_ashr_i32 s1, s0, 31
	s_lshl_b64 s[0:1], s[0:1], 3
	v_mul_f32_e32 v0, 0x5f7ffffc, v0
	v_rcp_iflag_f32_e32 v1, v1
	s_add_u32 s0, s2, s0
	v_mul_f32_e32 v9, 0x2f800000, v0
	s_addc_u32 s1, s3, s1
	v_trunc_f32_e32 v10, v9
	s_load_dwordx2 s[0:1], s[0:1], 0x0
	v_mac_f32_e32 v0, 0xcf800000, v10
	v_cvt_u32_f32_e32 v9, v0
	v_mul_f32_e32 v0, 0x4f7ffffe, v1
	v_cvt_u32_f32_e32 v10, v10
	v_cvt_u32_f32_e32 v11, v0
	s_add_i32 s8, s6, -1
	s_waitcnt lgkmcnt(0)
	v_mov_b32_e32 v6, s1
	v_mov_b32_e32 v7, s0
	;; [unrolled: 1-line block ×3, first 2 shown]
	s_mov_b32 s6, 0x3fb8aa3b
	s_mov_b32 s7, 0xc2ce8ed0
	;; [unrolled: 1-line block ×4, first 2 shown]
	v_mov_b32_e32 v12, 0x7f800000
	s_mul_hi_i32 s11, s8, s15
	s_cmp_lg_u64 s[10:11], 0
	s_mul_i32 s4, s8, s15
	s_cbranch_scc0 .LBB30_15
.LBB30_9:
	s_sub_u32 s0, 0, s9
	v_readfirstlane_b32 s5, v9
	v_readfirstlane_b32 s24, v10
	s_subb_u32 s1, 0, 0
	s_mul_hi_u32 s20, s0, s5
	s_mul_i32 s25, s0, s24
	s_mul_i32 s14, s1, s5
	s_add_i32 s20, s20, s25
	s_add_i32 s20, s20, s14
	s_mul_i32 s26, s0, s5
	s_mul_hi_u32 s14, s5, s20
	s_mul_i32 s25, s5, s20
	s_mul_hi_u32 s5, s5, s26
	s_add_u32 s5, s5, s25
	s_addc_u32 s14, 0, s14
	s_mul_hi_u32 s27, s24, s26
	s_mul_i32 s26, s24, s26
	s_add_u32 s5, s5, s26
	s_mul_hi_u32 s25, s24, s20
	s_addc_u32 s5, s14, s27
	s_addc_u32 s14, s25, 0
	s_mul_i32 s20, s24, s20
	s_add_u32 s5, s5, s20
	s_addc_u32 s14, 0, s14
	v_add_co_u32_e32 v0, vcc, s5, v9
	s_cmp_lg_u64 vcc, 0
	s_addc_u32 s5, s24, s14
	v_readfirstlane_b32 s20, v0
	s_mul_i32 s14, s0, s5
	s_mul_hi_u32 s24, s0, s20
	s_add_i32 s14, s24, s14
	s_mul_i32 s1, s1, s20
	s_add_i32 s14, s14, s1
	s_mul_i32 s0, s0, s20
	s_mul_hi_u32 s24, s5, s0
	s_mul_i32 s25, s5, s0
	s_mul_i32 s27, s20, s14
	s_mul_hi_u32 s0, s20, s0
	s_mul_hi_u32 s26, s20, s14
	s_add_u32 s0, s0, s27
	s_addc_u32 s20, 0, s26
	s_add_u32 s0, s0, s25
	s_mul_hi_u32 s1, s5, s14
	s_addc_u32 s0, s20, s24
	s_addc_u32 s1, s1, 0
	s_mul_i32 s14, s5, s14
	s_add_u32 s0, s0, s14
	s_addc_u32 s1, 0, s1
	v_add_co_u32_e32 v0, vcc, s0, v0
	s_cmp_lg_u64 vcc, 0
	s_addc_u32 s5, s5, s1
	s_ashr_i32 s0, s11, 31
	s_add_u32 s24, s4, s0
	s_mov_b32 s1, s0
	s_addc_u32 s25, s11, s0
	s_xor_b64 s[24:25], s[24:25], s[0:1]
	v_readfirstlane_b32 s14, v0
	s_mul_i32 s11, s24, s5
	s_mul_hi_u32 s20, s24, s14
	s_mul_hi_u32 s1, s24, s5
	s_add_u32 s11, s20, s11
	s_addc_u32 s1, 0, s1
	s_mul_hi_u32 s26, s25, s14
	s_mul_i32 s14, s25, s14
	s_add_u32 s11, s11, s14
	s_mul_hi_u32 s20, s25, s5
	s_addc_u32 s1, s1, s26
	s_addc_u32 s11, s20, 0
	s_mul_i32 s5, s25, s5
	s_add_u32 s1, s1, s5
	s_addc_u32 s5, 0, s11
	s_mul_i32 s5, s9, s5
	s_mul_hi_u32 s20, s9, s1
	s_add_i32 s20, s20, s5
	s_mul_i32 s5, s9, s1
	v_mov_b32_e32 v0, s5
	s_add_u32 s11, s1, 1
	s_add_u32 s14, s1, 2
	v_sub_co_u32_e32 v0, vcc, s24, v0
	s_cmp_lg_u64 vcc, 0
	s_subb_u32 s5, s25, s20
	v_subrev_co_u32_e32 v1, vcc, s9, v0
	s_cmp_lg_u64 vcc, 0
	s_subb_u32 s20, s5, 0
	v_cmp_le_u32_e32 vcc, s9, v1
	s_cmp_eq_u32 s20, 0
	v_cndmask_b32_e64 v1, 0, -1, vcc
	s_cselect_b64 vcc, -1, 0
	v_cndmask_b32_e32 v1, -1, v1, vcc
	v_mov_b32_e32 v13, s11
	v_mov_b32_e32 v14, s14
	v_cmp_ne_u32_e32 vcc, 0, v1
	v_cndmask_b32_e32 v1, v13, v14, vcc
	v_cmp_le_u32_e32 vcc, s9, v0
	s_cmp_eq_u32 s5, 0
	v_cndmask_b32_e64 v0, 0, -1, vcc
	s_cselect_b64 vcc, -1, 0
	v_cndmask_b32_e32 v0, -1, v0, vcc
	v_mov_b32_e32 v13, s1
	v_cmp_ne_u32_e32 vcc, 0, v0
	v_cndmask_b32_e32 v0, v13, v1, vcc
	v_xor_b32_e32 v0, s0, v0
	v_subrev_co_u32_e32 v0, vcc, s0, v0
	s_cbranch_execnz .LBB30_11
.LBB30_10:
	s_sub_i32 s0, 0, s9
	v_mul_lo_u32 v0, s0, v11
	v_mul_hi_u32 v0, v11, v0
	v_add_u32_e32 v0, v11, v0
	v_mul_hi_u32 v0, s4, v0
	v_mul_lo_u32 v13, v0, s9
	v_sub_u32_e32 v13, s4, v13
	v_add_u32_e32 v1, 1, v0
	v_subrev_u32_e32 v14, s9, v13
	v_cmp_le_u32_e32 vcc, s9, v13
	v_cndmask_b32_e32 v13, v13, v14, vcc
	v_cndmask_b32_e32 v0, v0, v1, vcc
	v_add_u32_e32 v1, 1, v0
	v_cmp_le_u32_e32 vcc, s9, v13
	v_cndmask_b32_e32 v0, v0, v1, vcc
.LBB30_11:
	v_cmp_ne_u32_e32 vcc, v8, v0
	s_cbranch_vccz .LBB30_14
; %bb.12:
	s_add_i32 s0, s8, s9
	s_lshl_b32 s0, s0, 1
	v_mul_hi_u32 v1, v0, s16
	s_add_i32 s0, s0, s21
	s_mov_b32 s1, s10
	v_add_u32_e32 v1, v1, v0
	s_lshl_b64 s[0:1], s[0:1], 3
	v_lshrrev_b32_e32 v1, s17, v1
	s_add_u32 s4, s2, s0
	v_mul_lo_u32 v13, v1, s18
	s_addc_u32 s5, s3, s1
	v_cmp_eq_u32_e32 vcc, v13, v0
	v_cmp_gt_u32_e64 s[0:1], s19, v1
	s_or_b64 s[0:1], s[0:1], vcc
	s_and_b64 vcc, exec, s[0:1]
	s_cbranch_vccnz .LBB30_16
; %bb.13:
	s_add_i32 s11, s8, -1
	s_mov_b64 s[0:1], 0
	s_branch .LBB30_17
.LBB30_14:
                                        ; implicit-def: $sgpr0_sgpr1
                                        ; implicit-def: $vgpr14
                                        ; implicit-def: $vgpr1
                                        ; implicit-def: $vgpr13
                                        ; implicit-def: $sgpr11
                                        ; implicit-def: $vgpr0
	s_branch .LBB30_18
.LBB30_15:
                                        ; implicit-def: $vgpr0_vgpr1
	s_branch .LBB30_10
.LBB30_16:
	s_mov_b64 s[0:1], -1
	s_mov_b32 s11, s8
	v_mov_b32_e32 v0, v8
.LBB30_17:
	v_lshl_add_u32 v14, s8, 9, v4
	v_ashrrev_i32_e32 v15, 31, v14
	v_lshlrev_b64 v[14:15], 2, v[14:15]
	v_mov_b32_e32 v1, s23
	v_add_co_u32_e32 v14, vcc, s22, v14
	v_addc_co_u32_e32 v15, vcc, v1, v15, vcc
	global_load_dword v14, v[14:15], off
	s_load_dwordx2 s[4:5], s[4:5], 0x0
	v_max_f32_e32 v1, v7, v7
	s_waitcnt lgkmcnt(0)
	v_max_f32_e64 v13, s4, s4
	v_max_f32_e32 v1, v1, v13
	v_sub_f32_e32 v13, v7, v1
	v_sub_f32_e32 v15, s4, v1
	v_mul_f32_e32 v16, 0x3fb8aa3b, v13
	v_mul_f32_e32 v17, 0x3fb8aa3b, v15
	v_fma_f32 v18, v13, s6, -v16
	v_rndne_f32_e32 v19, v16
	v_fma_f32 v20, v15, s6, -v17
	v_rndne_f32_e32 v21, v17
	v_fmac_f32_e32 v18, 0x32a5705f, v13
	v_sub_f32_e32 v16, v16, v19
	v_fmac_f32_e32 v20, 0x32a5705f, v15
	v_sub_f32_e32 v17, v17, v21
	v_add_f32_e32 v16, v16, v18
	v_cvt_i32_f32_e32 v19, v19
	v_add_f32_e32 v17, v17, v20
	v_exp_f32_e32 v16, v16
	v_cvt_i32_f32_e32 v21, v21
	v_exp_f32_e32 v17, v17
	v_cmp_ngt_f32_e32 vcc, s7, v13
	v_ldexp_f32 v16, v16, v19
	v_cndmask_b32_e32 v16, 0, v16, vcc
	v_ldexp_f32 v17, v17, v21
	v_cmp_ngt_f32_e32 vcc, s7, v15
	v_cndmask_b32_e32 v17, 0, v17, vcc
	v_cmp_nlt_f32_e32 vcc, s12, v13
	v_cndmask_b32_e32 v16, v12, v16, vcc
	v_cmp_nlt_f32_e32 vcc, s12, v15
	v_cndmask_b32_e32 v17, v12, v17, vcc
	v_cmp_le_f32_e32 vcc, s13, v13
	v_cndmask_b32_e32 v16, 0, v16, vcc
	v_cmp_le_f32_e32 vcc, s13, v15
	v_cndmask_b32_e32 v15, 0, v17, vcc
	v_mul_f32_e32 v13, s5, v15
	v_fmac_f32_e32 v13, v6, v16
	s_waitcnt vmcnt(0)
	v_mul_f32_e32 v14, v14, v15
	v_fmac_f32_e32 v14, v5, v16
	s_cbranch_execnz .LBB30_19
.LBB30_18:
	s_add_i32 s11, s8, -1
	s_mov_b64 s[0:1], 0
	v_mov_b32_e32 v0, v8
	v_mov_b32_e32 v13, v6
	;; [unrolled: 1-line block ×3, first 2 shown]
	s_waitcnt vmcnt(0)
	v_mov_b32_e32 v14, v5
.LBB30_19:
	s_andn2_b64 vcc, exec, s[0:1]
	s_cbranch_vccz .LBB30_23
; %bb.20:
	v_mov_b32_e32 v8, v0
	s_mov_b32 s8, s11
	v_mov_b32_e32 v6, v13
	v_mov_b32_e32 v7, v1
	s_waitcnt vmcnt(0)
	v_mov_b32_e32 v5, v14
	s_mul_hi_i32 s11, s8, s15
	s_cmp_lg_u64 s[10:11], 0
	s_mul_i32 s4, s8, s15
	s_cbranch_scc1 .LBB30_9
	s_branch .LBB30_15
.LBB30_21:
                                        ; implicit-def: $sgpr20_sgpr21
	s_load_dwordx4 s[16:19], s[4:5], 0x44
	s_branch .LBB30_2
.LBB30_22:
                                        ; implicit-def: $vgpr2_vgpr3
	s_branch .LBB30_5
.LBB30_23:
	v_div_scale_f32 v0, s[0:1], v13, v13, v14
	v_rcp_f32_e32 v1, v0
	v_div_scale_f32 v4, vcc, v14, v13, v14
	s_waitcnt vmcnt(0)
	v_fma_f32 v5, -v0, v1, 1.0
	v_fmac_f32_e32 v1, v5, v1
	v_mul_f32_e32 v5, v4, v1
	v_fma_f32 v6, -v0, v5, v4
	v_fmac_f32_e32 v5, v6, v1
	v_fma_f32 v0, -v0, v5, v4
	v_div_fmas_f32 v0, v0, v1, v5
	v_div_fixup_f32 v0, v0, v13, v14
	global_store_dword v[2:3], v0, off
.LBB30_24:
	s_endpgm
	.section	.rodata,"a",@progbits
	.p2align	6, 0x0
	.amdhsa_kernel _ZL33flash_attn_stream_k_fixup_generalILi256ELi2ELi1EEvPfPK15HIP_vector_typeIfLj2EEiiiiS1_IjLj3EES5_S5_S5_
		.amdhsa_group_segment_fixed_size 0
		.amdhsa_private_segment_fixed_size 0
		.amdhsa_kernarg_size 336
		.amdhsa_user_sgpr_count 6
		.amdhsa_user_sgpr_private_segment_buffer 1
		.amdhsa_user_sgpr_dispatch_ptr 0
		.amdhsa_user_sgpr_queue_ptr 0
		.amdhsa_user_sgpr_kernarg_segment_ptr 1
		.amdhsa_user_sgpr_dispatch_id 0
		.amdhsa_user_sgpr_flat_scratch_init 0
		.amdhsa_user_sgpr_kernarg_preload_length 0
		.amdhsa_user_sgpr_kernarg_preload_offset 0
		.amdhsa_user_sgpr_private_segment_size 0
		.amdhsa_uses_dynamic_stack 0
		.amdhsa_system_sgpr_private_segment_wavefront_offset 0
		.amdhsa_system_sgpr_workgroup_id_x 1
		.amdhsa_system_sgpr_workgroup_id_y 1
		.amdhsa_system_sgpr_workgroup_id_z 1
		.amdhsa_system_sgpr_workgroup_info 0
		.amdhsa_system_vgpr_workitem_id 0
		.amdhsa_next_free_vgpr 22
		.amdhsa_next_free_sgpr 32
		.amdhsa_accum_offset 24
		.amdhsa_reserve_vcc 1
		.amdhsa_reserve_flat_scratch 0
		.amdhsa_float_round_mode_32 0
		.amdhsa_float_round_mode_16_64 0
		.amdhsa_float_denorm_mode_32 3
		.amdhsa_float_denorm_mode_16_64 3
		.amdhsa_dx10_clamp 1
		.amdhsa_ieee_mode 1
		.amdhsa_fp16_overflow 0
		.amdhsa_tg_split 0
		.amdhsa_exception_fp_ieee_invalid_op 0
		.amdhsa_exception_fp_denorm_src 0
		.amdhsa_exception_fp_ieee_div_zero 0
		.amdhsa_exception_fp_ieee_overflow 0
		.amdhsa_exception_fp_ieee_underflow 0
		.amdhsa_exception_fp_ieee_inexact 0
		.amdhsa_exception_int_div_zero 0
	.end_amdhsa_kernel
	.section	.text._ZL33flash_attn_stream_k_fixup_generalILi256ELi2ELi1EEvPfPK15HIP_vector_typeIfLj2EEiiiiS1_IjLj3EES5_S5_S5_,"axG",@progbits,_ZL33flash_attn_stream_k_fixup_generalILi256ELi2ELi1EEvPfPK15HIP_vector_typeIfLj2EEiiiiS1_IjLj3EES5_S5_S5_,comdat
.Lfunc_end30:
	.size	_ZL33flash_attn_stream_k_fixup_generalILi256ELi2ELi1EEvPfPK15HIP_vector_typeIfLj2EEiiiiS1_IjLj3EES5_S5_S5_, .Lfunc_end30-_ZL33flash_attn_stream_k_fixup_generalILi256ELi2ELi1EEvPfPK15HIP_vector_typeIfLj2EEiiiiS1_IjLj3EES5_S5_S5_
                                        ; -- End function
	.section	.AMDGPU.csdata,"",@progbits
; Kernel info:
; codeLenInByte = 2816
; NumSgprs: 36
; NumVgprs: 22
; NumAgprs: 0
; TotalNumVgprs: 22
; ScratchSize: 0
; MemoryBound: 0
; FloatMode: 240
; IeeeMode: 1
; LDSByteSize: 0 bytes/workgroup (compile time only)
; SGPRBlocks: 4
; VGPRBlocks: 2
; NumSGPRsForWavesPerEU: 36
; NumVGPRsForWavesPerEU: 22
; AccumOffset: 24
; Occupancy: 8
; WaveLimiterHint : 0
; COMPUTE_PGM_RSRC2:SCRATCH_EN: 0
; COMPUTE_PGM_RSRC2:USER_SGPR: 6
; COMPUTE_PGM_RSRC2:TRAP_HANDLER: 0
; COMPUTE_PGM_RSRC2:TGID_X_EN: 1
; COMPUTE_PGM_RSRC2:TGID_Y_EN: 1
; COMPUTE_PGM_RSRC2:TGID_Z_EN: 1
; COMPUTE_PGM_RSRC2:TIDIG_COMP_CNT: 0
; COMPUTE_PGM_RSRC3_GFX90A:ACCUM_OFFSET: 5
; COMPUTE_PGM_RSRC3_GFX90A:TG_SPLIT: 0
	.section	.text._ZL18flash_attn_ext_vecILi256ELi2EL9ggml_type6ELS0_8ELb1EEvPKcS2_S2_S2_S2_PKiPfP15HIP_vector_typeIfLj2EEffffjfiS6_IjLj3EEiiiiiiiiiiiliiliiiiil,"axG",@progbits,_ZL18flash_attn_ext_vecILi256ELi2EL9ggml_type6ELS0_8ELb1EEvPKcS2_S2_S2_S2_PKiPfP15HIP_vector_typeIfLj2EEffffjfiS6_IjLj3EEiiiiiiiiiiiliiliiiiil,comdat
	.globl	_ZL18flash_attn_ext_vecILi256ELi2EL9ggml_type6ELS0_8ELb1EEvPKcS2_S2_S2_S2_PKiPfP15HIP_vector_typeIfLj2EEffffjfiS6_IjLj3EEiiiiiiiiiiiliiliiiiil ; -- Begin function _ZL18flash_attn_ext_vecILi256ELi2EL9ggml_type6ELS0_8ELb1EEvPKcS2_S2_S2_S2_PKiPfP15HIP_vector_typeIfLj2EEffffjfiS6_IjLj3EEiiiiiiiiiiiliiliiiiil
	.p2align	8
	.type	_ZL18flash_attn_ext_vecILi256ELi2EL9ggml_type6ELS0_8ELb1EEvPKcS2_S2_S2_S2_PKiPfP15HIP_vector_typeIfLj2EEffffjfiS6_IjLj3EEiiiiiiiiiiiliiliiiiil,@function
_ZL18flash_attn_ext_vecILi256ELi2EL9ggml_type6ELS0_8ELb1EEvPKcS2_S2_S2_S2_PKiPfP15HIP_vector_typeIfLj2EEffffjfiS6_IjLj3EEiiiiiiiiiiiliiliiiiil: ; @_ZL18flash_attn_ext_vecILi256ELi2EL9ggml_type6ELS0_8ELb1EEvPKcS2_S2_S2_S2_PKiPfP15HIP_vector_typeIfLj2EEffffjfiS6_IjLj3EEiiiiiiiiiiiliiliiiiil
; %bb.0:
	s_load_dwordx2 s[34:35], s[4:5], 0x64
	s_load_dwordx2 s[48:49], s[4:5], 0x80
	;; [unrolled: 1-line block ×3, first 2 shown]
	s_add_u32 s0, s0, s11
	s_addc_u32 s1, s1, 0
	s_waitcnt lgkmcnt(0)
	v_cvt_f32_u32_e32 v1, s35
	s_sub_i32 s6, 0, s35
	s_load_dwordx4 s[36:39], s[4:5], 0x40
	s_load_dwordx2 s[42:43], s[4:5], 0x50
	v_rcp_iflag_f32_e32 v1, v1
	v_mov_b32_e32 v139, 1.0
	s_waitcnt lgkmcnt(0)
	s_mov_b32 s44, s36
	v_mul_f32_e32 v1, 0x4f7ffffe, v1
	v_cvt_u32_f32_e32 v1, v1
	s_mov_b32 s45, s37
	v_readfirstlane_b32 s7, v1
	s_mul_i32 s6, s6, s7
	s_mul_hi_u32 s6, s7, s6
	s_add_i32 s7, s7, s6
	s_mul_hi_u32 s6, s10, s7
	s_mul_i32 s7, s6, s35
	s_sub_i32 s7, s10, s7
	s_add_i32 s11, s6, 1
	s_sub_i32 s12, s7, s35
	s_cmp_ge_u32 s7, s35
	s_cselect_b32 s6, s11, s6
	s_cselect_b32 s7, s12, s7
	s_add_i32 s11, s6, 1
	s_cmp_ge_u32 s7, s35
	s_cselect_b32 s50, s11, s6
	s_abs_i32 s6, s49
	v_cvt_f32_u32_e32 v1, s6
	s_mul_i32 s12, s50, s35
	s_sub_i32 s13, 0, s6
	s_sub_i32 s40, s10, s12
	v_rcp_iflag_f32_e32 v1, v1
	s_abs_i32 s11, s35
	s_xor_b32 s7, s35, s49
	s_ashr_i32 s7, s7, 31
	v_mul_f32_e32 v1, 0x4f7ffffe, v1
	v_cvt_u32_f32_e32 v1, v1
	v_readfirstlane_b32 s10, v1
	s_mul_i32 s13, s13, s10
	s_mul_hi_u32 s12, s10, s13
	s_add_i32 s10, s10, s12
	s_mul_hi_u32 s10, s11, s10
	s_mul_i32 s12, s10, s6
	s_sub_i32 s11, s11, s12
	s_add_i32 s13, s10, 1
	s_sub_i32 s12, s11, s6
	s_cmp_ge_u32 s11, s6
	s_cselect_b32 s10, s13, s10
	s_cselect_b32 s11, s12, s11
	s_add_i32 s12, s10, 1
	s_cmp_ge_u32 s11, s6
	s_cselect_b32 s6, s12, s10
	s_xor_b32 s6, s6, s7
	s_sub_i32 s47, s6, s7
	s_abs_i32 s14, s14
	s_abs_i32 s46, s47
	v_cvt_f32_u32_e32 v1, s14
	v_cvt_f32_u32_e32 v2, s46
	v_cmp_le_f32_e64 s[6:7], s37, 0
	s_and_b64 vcc, exec, s[6:7]
	v_rcp_iflag_f32_e32 v1, v1
	v_rcp_iflag_f32_e32 v2, v2
	v_mul_f32_e32 v1, 0x4f7ffffe, v1
	v_mul_f32_e32 v2, 0x4f7ffffe, v2
	v_cvt_u32_f32_e32 v1, v1
	v_cvt_u32_f32_e32 v2, v2
	v_readfirstlane_b32 s49, v1
	v_readfirstlane_b32 s51, v2
	s_cbranch_vccnz .LBB31_2
; %bb.1:
	s_sub_i32 s6, s40, s42
	s_lshl_b32 s6, s6, 1
	s_add_i32 s10, s40, 1
	s_or_b32 s11, s6, 1
	s_cmp_lt_u32 s40, s42
	s_cselect_b64 vcc, -1, 0
	s_and_b64 s[6:7], vcc, exec
	v_mov_b32_e32 v1, s39
	v_mov_b32_e32 v2, s38
	s_cselect_b32 s6, s10, s11
	v_cndmask_b32_e32 v18, v1, v2, vcc
	v_cvt_f32_i32_e32 v1, s6
	v_cmp_neq_f32_e32 vcc, 1.0, v18
	s_mov_b32 s6, 0x3f2aaaab
	s_movk_i32 s10, 0x204
	v_cndmask_b32_e32 v19, 1.0, v1, vcc
	v_cmp_eq_f32_e32 vcc, 0, v19
	v_cndmask_b32_e64 v20, |v18|, 1.0, vcc
	v_frexp_mant_f32_e32 v1, v20
	v_cmp_gt_f32_e64 s[6:7], s6, v1
	v_cndmask_b32_e64 v2, 1.0, 2.0, s[6:7]
	v_mul_f32_e32 v1, v1, v2
	v_add_f32_e32 v2, 1.0, v1
	v_rcp_f32_e32 v10, v2
	v_add_f32_e32 v3, -1.0, v2
	v_sub_f32_e32 v5, v1, v3
	v_add_f32_e32 v3, -1.0, v1
	v_mul_f32_e32 v1, v3, v10
	v_mul_f32_e32 v4, v2, v1
	v_fma_f32 v6, v1, v2, -v4
	v_fmac_f32_e32 v6, v1, v5
	v_add_f32_e32 v2, v4, v6
	v_sub_f32_e32 v5, v3, v2
	v_pk_add_f32 v[8:9], v[2:3], v[4:5] neg_lo:[0,1] neg_hi:[0,1]
	v_mov_b32_e32 v7, v2
	v_pk_add_f32 v[2:3], v[8:9], v[6:7] neg_lo:[0,1] neg_hi:[0,1]
	v_add_f32_e32 v2, v2, v3
	v_add_f32_e32 v2, v5, v2
	v_mul_f32_e32 v3, v10, v2
	v_add_f32_e32 v2, v1, v3
	v_sub_f32_e32 v1, v2, v1
	v_sub_f32_e32 v1, v3, v1
	v_mul_f32_e32 v3, v2, v2
	v_fma_f32 v5, v2, v2, -v3
	v_add_f32_e32 v4, v1, v1
	v_fmac_f32_e32 v5, v2, v4
	v_add_f32_e32 v4, v3, v5
	v_mov_b32_e32 v6, 0x3e91f4c4
	v_fmac_f32_e32 v6, 0x3e76c4e1, v4
	v_mov_b32_e32 v7, 0x3ecccdef
	v_fmac_f32_e32 v7, v4, v6
	v_sub_f32_e32 v3, v4, v3
	v_sub_f32_e32 v12, v5, v3
	v_mul_f32_e32 v3, v4, v7
	v_fma_f32 v5, v4, v7, -v3
	v_fmac_f32_e32 v5, v12, v7
	v_add_f32_e32 v6, v3, v5
	v_add_f32_e32 v7, 0x3f2aaaaa, v6
	v_sub_f32_e32 v3, v6, v3
	v_sub_f32_e32 v3, v5, v3
	v_add_f32_e32 v5, 0xbf2aaaaa, v7
	v_add_f32_e32 v3, 0x31739010, v3
	v_sub_f32_e32 v5, v6, v5
	v_pk_mul_f32 v[8:9], v[2:3], v[4:5]
	v_fma_f32 v6, v4, v2, -v8
	v_pk_add_f32 v[10:11], v[2:3], v[4:5]
	v_fmac_f32_e32 v6, v4, v1
	v_mov_b32_e32 v9, v11
	v_fmac_f32_e32 v6, v12, v2
	v_pk_add_f32 v[4:5], v[8:9], v[6:7]
	v_sub_f32_e32 v3, v4, v8
	v_sub_f32_e32 v3, v6, v3
	;; [unrolled: 1-line block ×3, first 2 shown]
	v_add_f32_e32 v9, v11, v6
	v_mov_b32_e32 v6, v5
	v_pk_mul_f32 v[6:7], v[4:5], v[6:7]
	v_cvt_f64_f32_e32 v[10:11], v20
	v_frexp_exp_i32_f64_e32 v7, v[10:11]
	v_subbrev_co_u32_e64 v7, s[6:7], 0, v7, s[6:7]
	v_cvt_f32_i32_e32 v7, v7
	v_fma_f32 v8, v4, v5, -v6
	v_fmac_f32_e32 v8, v4, v9
	s_mov_b32 s6, 0x3f317218
	v_mul_f32_e32 v4, 0x3f317218, v7
	v_fmac_f32_e32 v8, v3, v5
	v_fma_f32 v10, v7, s6, -v4
	v_fmac_f32_e32 v10, 0xb102e308, v7
	v_ldexp_f32 v11, v2, 1
	v_add_f32_e32 v5, v6, v8
	v_pk_add_f32 v[2:3], v[4:5], v[10:11]
	v_mov_b32_e32 v12, v5
	v_mov_b32_e32 v13, v3
	;; [unrolled: 1-line block ×3, first 2 shown]
	v_pk_add_f32 v[6:7], v[12:13], v[6:7] neg_lo:[0,1] neg_hi:[0,1]
	v_mov_b32_e32 v9, v5
	v_ldexp_f32 v1, v1, 1
	v_pk_add_f32 v[6:7], v[8:9], v[6:7] neg_lo:[0,1] neg_hi:[0,1]
	v_add_f32_e32 v1, v1, v6
	v_add_f32_e32 v5, v1, v7
	v_pk_add_f32 v[6:7], v[2:3], v[4:5] neg_lo:[0,1] neg_hi:[0,1]
	v_pk_add_f32 v[8:9], v[2:3], v[4:5]
	v_mov_b32_e32 v12, v6
	v_mov_b32_e32 v13, v9
	;; [unrolled: 1-line block ×3, first 2 shown]
	v_pk_add_f32 v[12:13], v[10:11], v[12:13]
	v_mov_b32_e32 v4, v13
	v_pk_add_f32 v[14:15], v[4:5], v[2:3] neg_lo:[0,1] neg_hi:[0,1]
	v_mov_b32_e32 v1, v14
	v_mov_b32_e32 v12, v9
	;; [unrolled: 1-line block ×4, first 2 shown]
	v_pk_add_f32 v[6:7], v[10:11], v[6:7] neg_lo:[0,1] neg_hi:[0,1]
	v_pk_add_f32 v[16:17], v[8:9], v[0:1] neg_lo:[0,1] neg_hi:[0,1]
	;; [unrolled: 1-line block ×3, first 2 shown]
	v_mov_b32_e32 v10, v5
	v_pk_add_f32 v[2:3], v[10:11], v[2:3] neg_lo:[0,1] neg_hi:[0,1]
	v_mov_b32_e32 v16, v6
	v_pk_add_f32 v[8:9], v[16:17], v[2:3]
	v_mov_b32_e32 v10, v9
	v_pk_add_f32 v[10:11], v[8:9], v[10:11]
	v_pk_add_f32 v[4:5], v[4:5], v[10:11]
	v_mov_b32_e32 v7, v13
	v_mov_b32_e32 v9, v4
	v_pk_add_f32 v[12:13], v[8:9], v[6:7] neg_lo:[0,1] neg_hi:[0,1]
	v_mov_b32_e32 v3, v10
	v_sub_f32_e32 v1, v8, v12
	v_pk_add_f32 v[2:3], v[2:3], v[12:13] neg_lo:[0,1] neg_hi:[0,1]
	v_sub_f32_e32 v1, v6, v1
	v_add_f32_e32 v1, v2, v1
	v_add_f32_e32 v1, v1, v3
	;; [unrolled: 1-line block ×3, first 2 shown]
	v_sub_f32_e32 v3, v2, v4
	v_sub_f32_e32 v1, v1, v3
	v_mul_f32_e32 v3, v19, v2
	v_fma_f32 v2, v19, v2, -v3
	v_fmac_f32_e32 v2, v19, v1
	v_add_f32_e32 v1, v3, v2
	v_cmp_class_f32_e64 s[6:7], v3, s10
	v_sub_f32_e32 v4, v1, v3
	v_cndmask_b32_e64 v1, v1, v3, s[6:7]
	s_mov_b32 s12, 0x42b17218
	v_mov_b32_e32 v3, 0x37000000
	v_cmp_eq_f32_e64 s[6:7], s12, v1
	v_cndmask_b32_e64 v3, 0, v3, s[6:7]
	v_sub_f32_e32 v2, v2, v4
	v_sub_f32_e32 v4, v1, v3
	s_mov_b32 s6, 0x3fb8aa3b
	v_mul_f32_e32 v5, 0x3fb8aa3b, v4
	v_fma_f32 v6, v4, s6, -v5
	v_rndne_f32_e32 v7, v5
	v_fmac_f32_e32 v6, 0x32a5705f, v4
	v_sub_f32_e32 v5, v5, v7
	v_add_f32_e32 v5, v5, v6
	v_exp_f32_e32 v5, v5
	v_cvt_i32_f32_e32 v6, v7
	s_mov_b32 s11, 0x7f800000
	v_cmp_neq_f32_e64 s[6:7], |v1|, s11
	v_cndmask_b32_e64 v1, 0, v2, s[6:7]
	s_mov_b32 s6, 0xc2ce8ed0
	v_ldexp_f32 v2, v5, v6
	v_cmp_ngt_f32_e64 s[6:7], s6, v4
	v_add_f32_e32 v1, v3, v1
	v_cndmask_b32_e64 v2, 0, v2, s[6:7]
	v_mov_b32_e32 v3, 0x7f800000
	v_cmp_nlt_f32_e64 s[6:7], s12, v4
	v_cndmask_b32_e64 v2, v3, v2, s[6:7]
	v_fma_f32 v1, v2, v1, v2
	v_cmp_class_f32_e64 s[6:7], v2, s10
	v_trunc_f32_e32 v4, v19
	v_cndmask_b32_e64 v1, v1, v2, s[6:7]
	v_cndmask_b32_e64 v2, v18, 1.0, vcc
	v_cmp_eq_f32_e32 vcc, v4, v19
	v_mul_f32_e32 v4, 0.5, v19
	v_trunc_f32_e32 v6, v4
	v_cmp_neq_f32_e64 s[6:7], v6, v4
	s_and_b64 s[6:7], vcc, s[6:7]
	v_cndmask_b32_e64 v4, 1.0, v2, s[6:7]
	s_brev_b32 s16, -2
	v_mov_b32_e32 v5, 0x7fc00000
	v_bfi_b32 v1, s16, v1, v4
	v_cndmask_b32_e32 v4, v5, v1, vcc
	v_cmp_gt_f32_e32 vcc, 0, v2
	v_cndmask_b32_e32 v1, v1, v4, vcc
	v_cmp_eq_f32_e32 vcc, s11, v20
	v_cmp_eq_f32_e64 s[10:11], 0, v2
	v_cmp_gt_f32_e64 s[12:13], 0, v19
	s_xor_b64 s[12:13], s[12:13], s[10:11]
	v_cndmask_b32_e64 v3, v3, 0, s[12:13]
	v_cndmask_b32_e64 v4, 0, v2, s[6:7]
	v_bfi_b32 v3, s16, v3, v4
	s_or_b64 vcc, vcc, s[10:11]
	v_cndmask_b32_e32 v1, v1, v3, vcc
	v_cmp_o_f32_e32 vcc, v2, v2
	v_cndmask_b32_e32 v139, v5, v1, vcc
.LBB31_2:
	s_load_dwordx16 s[16:31], s[4:5], 0x0
	v_bfe_u32 v129, v0, 10, 10
	s_lshl_b32 s33, s8, 1
	v_and_b32_e32 v127, 0x3ff, v0
	v_mov_b32_e32 v28, 0
	v_cmp_lt_u32_e64 s[6:7], 1, v129
	v_cmp_gt_u32_e32 vcc, 2, v129
	v_lshlrev_b32_e32 v131, 9, v129
	buffer_store_dword v28, off, s[0:3], 0
	buffer_store_dword v28, off, s[0:3], 0 offset:8
	buffer_store_dword v28, off, s[0:3], 0 offset:4
	;; [unrolled: 1-line block ×7, first 2 shown]
	s_and_saveexec_b64 s[12:13], vcc
	s_cbranch_execz .LBB31_17
; %bb.3:
	v_or_b32_e32 v0, s33, v129
	v_cmp_le_i32_e32 vcc, s34, v0
	v_lshl_add_u32 v6, v127, 2, v131
	s_and_saveexec_b64 s[10:11], vcc
	s_xor_b64 s[10:11], exec, s[10:11]
	s_cbranch_execz .LBB31_7
; %bb.4:
	v_mov_b32_e32 v0, 0
	v_cmp_gt_u32_e32 vcc, 8, v127
	ds_write2_b32 v6, v0, v0 offset1:32
	s_and_saveexec_b64 s[38:39], vcc
	s_cbranch_execz .LBB31_6
; %bb.5:
	v_lshl_add_u32 v2, v127, 2, v6
	v_mov_b32_e32 v1, v0
	ds_write_b64 v2, v[0:1] offset:256
.LBB31_6:
	s_or_b64 exec, exec, s[38:39]
                                        ; implicit-def: $vgpr6
.LBB31_7:
	s_andn2_saveexec_b64 s[10:11], s[10:11]
	s_cbranch_execz .LBB31_17
; %bb.8:
	s_load_dwordx4 s[52:55], s[4:5], 0x70
	v_mbcnt_lo_u32_b32 v7, -1, 0
	v_mbcnt_hi_u32_b32 v9, -1, v7
	v_and_b32_e32 v7, 0x60, v9
	v_xor_b32_e32 v8, 4, v9
	s_waitcnt lgkmcnt(0)
	s_mul_i32 s10, s50, s54
	s_mul_i32 s37, s33, s52
	;; [unrolled: 1-line block ×3, first 2 shown]
	s_add_i32 s10, s10, s37
	s_add_i32 s10, s10, s11
	s_ashr_i32 s11, s10, 31
	s_add_u32 s10, s16, s10
	v_mul_lo_u32 v0, v129, s52
	s_addc_u32 s11, s17, s11
	v_ashrrev_i32_e32 v1, 31, v0
	v_mov_b32_e32 v2, s11
	v_add_co_u32_e32 v0, vcc, s10, v0
	v_addc_co_u32_e32 v1, vcc, v2, v1, vcc
	v_lshlrev_b32_e32 v2, 4, v127
	v_add_co_u32_e32 v0, vcc, v0, v2
	v_addc_co_u32_e32 v1, vcc, 0, v1, vcc
	global_load_dwordx4 v[2:5], v[0:1], off
	v_add_u32_e32 v13, 32, v7
	v_xor_b32_e32 v10, 2, v9
	v_cmp_lt_i32_e32 vcc, v8, v13
	v_cndmask_b32_e32 v7, v9, v8, vcc
	v_cmp_lt_i32_e32 vcc, v10, v13
	v_cndmask_b32_e32 v10, v9, v10, vcc
	v_lshlrev_b32_e32 v8, 2, v7
	v_lshlrev_b32_e32 v7, 2, v10
	v_xor_b32_e32 v11, 1, v9
	v_cmp_lt_i32_e32 vcc, v11, v13
	v_cndmask_b32_e32 v9, v9, v11, vcc
	v_lshlrev_b32_e32 v9, 2, v9
	s_mov_b32 s16, 0x42fe0000
	s_mov_b32 s37, s36
	s_waitcnt vmcnt(0)
	v_mul_f32_e32 v12, s36, v2
	v_mov_b32_e32 v2, v5
	v_pk_mul_f32 v[2:3], v[2:3], s[44:45] op_sel_hi:[1,0]
	v_max_f32_e64 v5, |v12|, |v12|
	v_mul_f32_e32 v10, s36, v4
	v_max_f32_e64 v5, v5, |v3|
	v_max3_f32 v5, v5, |v10|, |v2|
	ds_bpermute_b32 v14, v8, v5
	v_add_f32_e32 v15, v3, v12
	v_fmac_f32_e32 v15, s36, v4
	v_add_f32_e32 v4, v2, v15
	ds_bpermute_b32 v15, v8, v4
	s_waitcnt lgkmcnt(1)
	v_max_f32_e32 v14, v14, v14
	v_max_f32_e32 v5, v5, v14
	ds_bpermute_b32 v14, v7, v5
	s_waitcnt lgkmcnt(1)
	v_add_f32_e32 v4, v4, v15
	ds_bpermute_b32 v11, v7, v4
	s_waitcnt lgkmcnt(1)
	v_max_f32_e32 v13, v14, v14
	v_max_f32_e32 v14, v5, v13
	ds_bpermute_b32 v15, v9, v14
	s_waitcnt lgkmcnt(1)
	v_add_f32_e32 v5, v4, v11
	ds_bpermute_b32 v11, v9, v5
	v_mov_b32_e32 v13, 0
	s_waitcnt lgkmcnt(1)
	v_max_f32_e32 v4, v15, v15
	v_max_f32_e32 v4, v14, v4
	v_div_scale_f32 v14, s[10:11], s16, s16, v4
	v_rcp_f32_e32 v15, v14
	v_div_scale_f32 v16, vcc, v4, s16, v4
	v_fma_f32 v17, -v14, v15, 1.0
	v_fmac_f32_e32 v15, v17, v15
	v_mul_f32_e32 v17, v16, v15
	v_fma_f32 v18, -v14, v17, v16
	v_fmac_f32_e32 v17, v18, v15
	v_fma_f32 v14, -v14, v17, v16
	v_div_fmas_f32 v14, v14, v15, v17
	v_div_fixup_f32 v4, v14, s16, v4
	v_cmp_neq_f32_e32 vcc, 0, v4
	s_and_saveexec_b64 s[10:11], vcc
	s_cbranch_execz .LBB31_10
; %bb.9:
	v_div_scale_f32 v13, s[16:17], v4, v4, v12
	v_rcp_f32_e32 v14, v13
	v_div_scale_f32 v15, vcc, v12, v4, v12
	s_brev_b32 s38, -2
	v_fma_f32 v16, -v13, v14, 1.0
	v_fmac_f32_e32 v14, v16, v14
	v_mul_f32_e32 v16, v15, v14
	v_fma_f32 v17, -v13, v16, v15
	v_fmac_f32_e32 v16, v17, v14
	v_fma_f32 v13, -v13, v16, v15
	v_div_fmas_f32 v13, v13, v14, v16
	v_div_fixup_f32 v12, v13, v4, v12
	v_trunc_f32_e32 v13, v12
	v_sub_f32_e32 v14, v12, v13
	v_cmp_ge_f32_e64 s[16:17], |v14|, 0.5
	v_cndmask_b32_e64 v14, 0, 1.0, s[16:17]
	v_div_scale_f32 v15, s[16:17], v4, v4, v2
	v_rcp_f32_e32 v16, v15
	v_bfi_b32 v12, s38, v14, v12
	v_add_f32_e32 v12, v13, v12
	v_cvt_i32_f32_e32 v12, v12
	v_fma_f32 v13, -v15, v16, 1.0
	v_fmac_f32_e32 v16, v13, v16
	v_div_scale_f32 v13, vcc, v2, v4, v2
	v_mul_f32_e32 v14, v13, v16
	v_fma_f32 v17, -v15, v14, v13
	v_fmac_f32_e32 v14, v17, v16
	v_div_scale_f32 v17, s[16:17], v4, v4, v3
	v_rcp_f32_e32 v18, v17
	v_fma_f32 v13, -v15, v14, v13
	v_div_fmas_f32 v13, v13, v16, v14
	v_div_fixup_f32 v2, v13, v4, v2
	v_fma_f32 v14, -v17, v18, 1.0
	v_fmac_f32_e32 v18, v14, v18
	v_div_scale_f32 v14, vcc, v3, v4, v3
	v_mul_f32_e32 v15, v14, v18
	v_fma_f32 v16, -v17, v15, v14
	v_fmac_f32_e32 v15, v16, v18
	v_div_scale_f32 v16, s[16:17], v4, v4, v10
	v_rcp_f32_e32 v19, v16
	v_fma_f32 v14, -v17, v15, v14
	v_div_fmas_f32 v14, v14, v18, v15
	v_div_fixup_f32 v3, v14, v4, v3
	v_fma_f32 v15, -v16, v19, 1.0
	v_fmac_f32_e32 v19, v15, v19
	v_div_scale_f32 v15, vcc, v10, v4, v10
	v_mul_f32_e32 v17, v15, v19
	v_fma_f32 v18, -v16, v17, v15
	v_fmac_f32_e32 v17, v18, v19
	v_fma_f32 v15, -v16, v17, v15
	v_div_fmas_f32 v15, v15, v19, v17
	v_div_fixup_f32 v10, v15, v4, v10
	v_trunc_f32_e32 v15, v10
	v_sub_f32_e32 v16, v10, v15
	v_trunc_f32_e32 v13, v3
	v_cmp_ge_f32_e64 s[16:17], |v16|, 0.5
	v_sub_f32_e32 v14, v3, v13
	v_cndmask_b32_e64 v16, 0, 1.0, s[16:17]
	v_cmp_ge_f32_e64 s[16:17], |v14|, 0.5
	v_cndmask_b32_e64 v14, 0, 1.0, s[16:17]
	v_bfi_b32 v3, s38, v14, v3
	v_add_f32_e32 v3, v13, v3
	v_trunc_f32_e32 v13, v2
	v_sub_f32_e32 v14, v2, v13
	v_bfi_b32 v10, s38, v16, v10
	v_cmp_ge_f32_e64 s[16:17], |v14|, 0.5
	v_add_f32_e32 v10, v15, v10
	v_cndmask_b32_e64 v14, 0, 1.0, s[16:17]
	v_cvt_i32_f32_e32 v10, v10
	v_bfi_b32 v2, s38, v14, v2
	v_add_f32_e32 v2, v13, v2
	v_cvt_i32_f32_e32 v3, v3
	v_cvt_i32_f32_e32 v2, v2
	v_and_b32_e32 v10, 0xff, v10
	v_lshlrev_b32_e32 v10, 16, v10
	v_mov_b32_e32 v13, 8
	v_lshlrev_b32_sdwa v3, v13, v3 dst_sel:DWORD dst_unused:UNUSED_PAD src0_sel:DWORD src1_sel:BYTE_0
	v_lshl_or_b32 v2, v2, 24, v10
	v_and_b32_e32 v10, 0xff, v12
	v_or3_b32 v13, v2, v3, v10
.LBB31_10:
	s_or_b64 exec, exec, s[10:11]
	v_and_b32_e32 v2, 7, v127
	v_cmp_eq_u32_e64 s[10:11], 0, v2
	v_add_u32_e32 v10, v131, v127
	ds_write_b32 v6, v13
	s_and_saveexec_b64 s[16:17], s[10:11]
	s_cbranch_execz .LBB31_12
; %bb.11:
	s_waitcnt lgkmcnt(1)
	v_add_f32_e32 v5, v5, v11
	ds_write_b64 v10, v[4:5] offset:256
.LBB31_12:
	s_or_b64 exec, exec, s[16:17]
	global_load_dwordx4 v[0:3], v[0:1], off offset:512
	s_waitcnt vmcnt(0) lgkmcnt(1)
	v_mul_f32_e32 v11, s36, v0
	v_mov_b32_e32 v0, v3
	v_pk_mul_f32 v[0:1], v[0:1], s[36:37]
	v_max_f32_e64 v3, |v11|, |v11|
	v_mul_f32_e32 v5, s36, v2
	v_max_f32_e64 v3, v3, |v1|
	v_max3_f32 v3, v3, |v5|, |v0|
	ds_bpermute_b32 v4, v8, v3
	v_add_f32_e32 v12, v1, v11
	v_fmac_f32_e32 v12, s36, v2
	v_add_f32_e32 v2, v0, v12
	ds_bpermute_b32 v8, v8, v2
	s_waitcnt lgkmcnt(1)
	v_max_f32_e32 v4, v4, v4
	v_max_f32_e32 v3, v3, v4
	ds_bpermute_b32 v4, v7, v3
	s_mov_b32 s36, 0x42fe0000
	s_waitcnt lgkmcnt(1)
	v_add_f32_e32 v2, v2, v8
	ds_bpermute_b32 v7, v7, v2
	s_waitcnt lgkmcnt(1)
	v_max_f32_e32 v4, v4, v4
	v_max_f32_e32 v4, v3, v4
	ds_bpermute_b32 v8, v9, v4
	s_waitcnt lgkmcnt(1)
	v_add_f32_e32 v3, v2, v7
	s_waitcnt lgkmcnt(0)
	v_max_f32_e32 v2, v8, v8
	v_max_f32_e32 v2, v4, v2
	v_div_scale_f32 v7, s[16:17], s36, s36, v2
	v_rcp_f32_e32 v8, v7
	ds_bpermute_b32 v4, v9, v3
	v_div_scale_f32 v9, vcc, v2, s36, v2
	v_fma_f32 v12, -v7, v8, 1.0
	v_fmac_f32_e32 v8, v12, v8
	v_mul_f32_e32 v12, v9, v8
	v_fma_f32 v13, -v7, v12, v9
	v_fmac_f32_e32 v12, v13, v8
	v_fma_f32 v7, -v7, v12, v9
	v_div_fmas_f32 v7, v7, v8, v12
	v_div_fixup_f32 v2, v7, s36, v2
	v_cmp_neq_f32_e32 vcc, 0, v2
	v_mov_b32_e32 v7, 0
	s_and_saveexec_b64 s[16:17], vcc
	s_cbranch_execz .LBB31_14
; %bb.13:
	v_div_scale_f32 v7, s[36:37], v2, v2, v11
	v_rcp_f32_e32 v8, v7
	v_div_scale_f32 v9, vcc, v11, v2, v11
	s_brev_b32 s38, -2
	v_fma_f32 v12, -v7, v8, 1.0
	v_fmac_f32_e32 v8, v12, v8
	v_mul_f32_e32 v12, v9, v8
	v_fma_f32 v13, -v7, v12, v9
	v_fmac_f32_e32 v12, v13, v8
	v_fma_f32 v7, -v7, v12, v9
	v_div_fmas_f32 v7, v7, v8, v12
	v_div_fixup_f32 v7, v7, v2, v11
	v_trunc_f32_e32 v8, v7
	v_sub_f32_e32 v9, v7, v8
	v_cmp_ge_f32_e64 s[36:37], |v9|, 0.5
	v_cndmask_b32_e64 v9, 0, 1.0, s[36:37]
	v_div_scale_f32 v11, s[36:37], v2, v2, v0
	v_rcp_f32_e32 v12, v11
	v_bfi_b32 v7, s38, v9, v7
	v_add_f32_e32 v7, v8, v7
	v_cvt_i32_f32_e32 v7, v7
	v_fma_f32 v8, -v11, v12, 1.0
	v_fmac_f32_e32 v12, v8, v12
	v_div_scale_f32 v8, vcc, v0, v2, v0
	v_mul_f32_e32 v9, v8, v12
	v_fma_f32 v13, -v11, v9, v8
	v_fmac_f32_e32 v9, v13, v12
	v_div_scale_f32 v13, s[36:37], v2, v2, v1
	v_rcp_f32_e32 v14, v13
	v_fma_f32 v8, -v11, v9, v8
	v_div_fmas_f32 v8, v8, v12, v9
	v_div_fixup_f32 v0, v8, v2, v0
	v_fma_f32 v9, -v13, v14, 1.0
	v_fmac_f32_e32 v14, v9, v14
	v_div_scale_f32 v9, vcc, v1, v2, v1
	v_mul_f32_e32 v11, v9, v14
	v_fma_f32 v12, -v13, v11, v9
	v_fmac_f32_e32 v11, v12, v14
	v_div_scale_f32 v12, s[36:37], v2, v2, v5
	v_rcp_f32_e32 v15, v12
	v_fma_f32 v9, -v13, v11, v9
	v_div_fmas_f32 v9, v9, v14, v11
	v_div_fixup_f32 v1, v9, v2, v1
	v_fma_f32 v11, -v12, v15, 1.0
	v_fmac_f32_e32 v15, v11, v15
	v_div_scale_f32 v11, vcc, v5, v2, v5
	v_mul_f32_e32 v13, v11, v15
	v_fma_f32 v14, -v12, v13, v11
	v_fmac_f32_e32 v13, v14, v15
	v_fma_f32 v11, -v12, v13, v11
	v_div_fmas_f32 v11, v11, v15, v13
	v_div_fixup_f32 v5, v11, v2, v5
	v_trunc_f32_e32 v11, v5
	v_sub_f32_e32 v12, v5, v11
	v_trunc_f32_e32 v8, v1
	v_cmp_ge_f32_e64 s[36:37], |v12|, 0.5
	v_sub_f32_e32 v9, v1, v8
	v_cndmask_b32_e64 v12, 0, 1.0, s[36:37]
	v_cmp_ge_f32_e64 s[36:37], |v9|, 0.5
	v_cndmask_b32_e64 v9, 0, 1.0, s[36:37]
	v_bfi_b32 v1, s38, v9, v1
	v_add_f32_e32 v1, v8, v1
	v_trunc_f32_e32 v8, v0
	v_sub_f32_e32 v9, v0, v8
	v_bfi_b32 v5, s38, v12, v5
	v_cmp_ge_f32_e64 s[36:37], |v9|, 0.5
	v_add_f32_e32 v5, v11, v5
	v_cndmask_b32_e64 v9, 0, 1.0, s[36:37]
	v_cvt_i32_f32_e32 v5, v5
	v_bfi_b32 v0, s38, v9, v0
	v_add_f32_e32 v0, v8, v0
	v_cvt_i32_f32_e32 v1, v1
	v_cvt_i32_f32_e32 v0, v0
	v_and_b32_e32 v5, 0xff, v5
	v_lshlrev_b32_e32 v5, 16, v5
	v_mov_b32_e32 v8, 8
	v_lshlrev_b32_sdwa v1, v8, v1 dst_sel:DWORD dst_unused:UNUSED_PAD src0_sel:DWORD src1_sel:BYTE_0
	v_lshl_or_b32 v0, v0, 24, v5
	v_and_b32_e32 v5, 0xff, v7
	v_or3_b32 v7, v0, v1, v5
.LBB31_14:
	s_or_b64 exec, exec, s[16:17]
	ds_write_b32 v6, v7 offset:128
	s_and_saveexec_b64 s[16:17], s[10:11]
	s_cbranch_execz .LBB31_16
; %bb.15:
	s_waitcnt lgkmcnt(1)
	v_add_f32_e32 v3, v3, v4
	ds_write_b64 v10, v[2:3] offset:288
.LBB31_16:
	s_or_b64 exec, exec, s[16:17]
.LBB31_17:
	s_or_b64 exec, exec, s[12:13]
	v_and_b32_e32 v32, 3, v127
	v_lshlrev_b32_e32 v50, 2, v32
	s_waitcnt lgkmcnt(0)
	s_barrier
	ds_read2_b32 v[52:53], v50 offset1:4
	ds_read2_b32 v[54:55], v50 offset0:8 offset1:12
	ds_read_b128 v[0:3], v28 offset:256
	ds_read_b128 v[4:7], v28 offset:272
	;; [unrolled: 1-line block ×4, first 2 shown]
	ds_read2_b32 v[56:57], v50 offset0:16 offset1:20
	ds_read2_b32 v[58:59], v50 offset0:24 offset1:28
	;; [unrolled: 1-line block ×9, first 2 shown]
	ds_read_b128 v[16:19], v28 offset:768
	ds_read_b128 v[20:23], v28 offset:784
	ds_read2_b32 v[74:75], v50 offset0:152 offset1:156
	ds_read2_b32 v[76:77], v50 offset0:160 offset1:164
	;; [unrolled: 1-line block ×5, first 2 shown]
	ds_read_b128 v[24:27], v28 offset:800
	ds_read_b128 v[28:31], v28 offset:816
	s_cmp_eq_u64 s[26:27], 0
	s_mov_b32 s41, s48
	s_waitcnt lgkmcnt(0)
	s_barrier
	s_cbranch_scc1 .LBB31_19
; %bb.18:
	s_load_dword s10, s[4:5], 0xd0
	s_mov_b32 s11, 0
	s_waitcnt lgkmcnt(0)
	s_mul_i32 s10, s10, s50
	s_add_i32 s10, s10, s8
	s_lshl_b64 s[10:11], s[10:11], 2
	s_add_u32 s10, s26, s10
	s_addc_u32 s11, s27, s11
	s_load_dword s41, s[10:11], 0x0
.LBB31_19:
	v_lshlrev_b32_e32 v33, 5, v129
	s_mov_b32 s10, 0xfeffffff
	s_mov_b32 s45, 0
	v_add_u32_e32 v133, v33, v127
	s_lshl_b32 s26, s9, 7
	s_mov_b32 s11, s10
	s_mov_b32 s44, s45
	s_waitcnt lgkmcnt(0)
	s_cmp_ge_i32 s26, s41
	v_pk_mov_b32 v[48:49], s[44:45], s[44:45] op_sel:[0,1]
	v_pk_mov_b32 v[172:173], s[10:11], s[10:11] op_sel:[0,1]
	v_mbcnt_lo_u32_b32 v141, -1, 0
	v_lshlrev_b32_e32 v137, 2, v127
	v_lshlrev_b32_e32 v135, 1, v133
	s_cbranch_scc1 .LBB31_70
; %bb.20:
	s_sub_i32 s8, 0, s46
	s_load_dwordx2 s[16:17], s[4:5], 0x8c
	s_load_dwordx4 s[36:39], s[4:5], 0x98
	s_sub_i32 s10, 0, s14
	s_mul_i32 s8, s8, s51
	s_mul_i32 s10, s10, s49
	s_mul_hi_u32 s8, s51, s8
	s_mul_hi_u32 s10, s49, s10
	s_abs_i32 s11, s40
	s_add_i32 s51, s51, s8
	s_add_i32 s49, s49, s10
	s_mul_hi_u32 s10, s11, s51
	s_ashr_i32 s12, s40, 31
	s_ashr_i32 s13, s47, 31
	;; [unrolled: 1-line block ×3, first 2 shown]
	s_waitcnt lgkmcnt(0)
	s_mul_i32 s37, s50, s37
	s_mul_hi_u32 s44, s50, s36
	s_xor_b32 s12, s12, s13
	s_mul_i32 s13, s10, s46
	s_add_i32 s37, s44, s37
	s_mul_i32 s44, s42, s36
	s_sub_i32 s11, s11, s13
	s_abs_i32 s8, s50
	s_add_i32 s37, s37, s44
	s_add_i32 s13, s10, 1
	s_sub_i32 s44, s11, s46
	s_cmp_ge_u32 s11, s46
	s_cselect_b32 s10, s13, s10
	s_cselect_b32 s11, s44, s11
	s_add_i32 s13, s10, 1
	s_cmp_ge_u32 s11, s46
	s_cselect_b32 s10, s13, s10
	s_xor_b32 s10, s10, s12
	s_sub_i32 s44, s10, s12
	s_load_dwordx2 s[12:13], s[4:5], 0xa8
	s_mul_i32 s10, s44, s17
	s_mul_i32 s36, s50, s36
	s_ashr_i32 s11, s10, 31
	s_add_u32 s17, s18, s36
	s_addc_u32 s18, s19, s37
	s_add_u32 s17, s17, s10
	s_waitcnt lgkmcnt(0)
	s_mul_i32 s13, s50, s13
	s_mul_hi_u32 s36, s50, s12
	s_addc_u32 s18, s18, s11
	s_add_i32 s13, s36, s13
	s_mul_i32 s36, s42, s12
	s_mul_i32 s44, s44, s39
	s_add_i32 s13, s13, s36
	s_mul_i32 s12, s50, s12
	s_ashr_i32 s36, s44, 31
	s_add_u32 s12, s20, s12
	s_mul_hi_u32 s27, s8, s49
	s_addc_u32 s13, s21, s13
	s_add_u32 s12, s12, s44
	s_mul_i32 s27, s27, s14
	s_addc_u32 s13, s13, s36
	s_sub_i32 s8, s8, s27
	v_mul_lo_u32 v86, v33, s38
	s_sub_i32 s20, s8, s14
	v_add_u32_e32 v108, s38, v86
	s_cmp_ge_u32 s8, s14
	v_add_u32_e32 v110, s38, v108
	s_cselect_b32 s8, s20, s8
	v_add_u32_e32 v112, s38, v110
	s_sub_i32 s20, s8, s14
	v_add_u32_e32 v114, s38, v112
	s_load_dwordx2 s[10:11], s[4:5], 0xc8
	s_load_dword s19, s[4:5], 0xd4
	s_cmp_ge_u32 s8, s14
	v_add_u32_e32 v116, s38, v114
	s_cselect_b32 s8, s20, s8
	v_add_u32_e32 v118, s38, v116
	s_xor_b32 s8, s8, s42
	v_add_u32_e32 v120, s38, v118
	s_sub_i32 s8, s8, s42
	v_add_u32_e32 v122, s38, v120
	s_ashr_i32 s14, s8, 31
	s_waitcnt lgkmcnt(0)
	s_mul_i32 s11, s8, s11
	s_mul_hi_u32 s20, s8, s10
	v_add_u32_e32 v124, s38, v122
	s_add_i32 s11, s20, s11
	s_mul_i32 s14, s14, s10
	v_add_u32_e32 v126, s38, v124
	s_add_i32 s11, s11, s14
	s_mul_i32 s8, s8, s10
	v_and_b32_e32 v34, 0x7c, v127
	v_mbcnt_hi_u32_b32 v36, -1, v141
	v_add_u32_e32 v128, s38, v126
	s_add_u32 s8, s22, s8
	v_add_u32_e32 v84, v33, v34
	v_and_b32_e32 v34, 0x7c, v36
	v_add_u32_e32 v130, s38, v128
	s_addc_u32 s10, s23, s11
	s_mul_i32 s11, s33, s15
	v_add_u32_e32 v34, 4, v34
	v_xor_b32_e32 v35, 2, v36
	v_add_u32_e32 v132, s38, v130
	s_ashr_i32 s14, s11, 31
	v_cmp_lt_i32_e32 vcc, v35, v34
	v_add_u32_e32 v134, s38, v132
	s_add_u32 s8, s8, s11
	s_mov_b32 s27, s45
	v_cndmask_b32_e32 v35, v36, v35, vcc
	v_add_u32_e32 v136, s38, v134
	s_addc_u32 s14, s10, s14
	s_lshl_b64 s[10:11], s[26:27], 1
	v_lshlrev_b32_e32 v145, 2, v35
	v_xor_b32_e32 v35, 1, v36
	v_add_u32_e32 v138, s38, v136
	s_add_u32 s36, s8, s10
	v_cmp_lt_i32_e32 vcc, v35, v34
	v_add_u32_e32 v140, s38, v138
	s_addc_u32 s37, s14, s11
	s_mul_i32 s8, s26, s38
	v_cndmask_b32_e32 v34, v36, v35, vcc
	v_add_u32_e32 v142, s38, v140
	s_add_u32 s8, s12, s8
	v_lshlrev_b32_e32 v147, 2, v34
	v_and_b32_e32 v34, 0x60, v36
	v_add_u32_e32 v144, s38, v142
	s_addc_u32 s27, s13, 0
	s_mul_i32 s10, s26, s16
	v_add_u32_e32 v37, 32, v34
	v_add_f32_e32 v149, v1, v1
	v_xor_b32_e32 v1, 4, v36
	v_add_u32_e32 v146, s38, v144
	s_add_u32 s42, s17, s10
	v_cmp_lt_i32_e32 vcc, v1, v37
	v_add_u32_e32 v148, s38, v146
	s_addc_u32 s49, s18, 0
	v_cndmask_b32_e32 v1, v36, v1, vcc
	v_add_u32_e32 v150, s38, v148
	s_cmp_lg_u64 s[22:23], 0
	v_lshlrev_b32_e32 v179, 2, v1
	v_xor_b32_e32 v1, 8, v36
	v_add_u32_e32 v152, s38, v150
	s_cselect_b64 s[10:11], -1, 0
	s_lshl_b32 s44, s19, 7
	v_cmp_lt_i32_e32 vcc, v1, v37
	v_add_u32_e32 v154, s38, v152
	s_cmp_lt_i32 s33, s34
	v_cndmask_b32_e32 v1, v36, v1, vcc
	v_add_u32_e32 v156, s38, v154
	s_cselect_b64 s[12:13], -1, 0
	v_lshlrev_b32_e32 v180, 2, v1
	v_xor_b32_e32 v1, 16, v36
	v_add_u32_e32 v158, s38, v156
	s_and_b64 s[22:23], s[10:11], s[12:13]
	s_or_b32 s12, s33, 1
	v_cmp_lt_i32_e32 vcc, v1, v37
	v_add_u32_e32 v160, s38, v158
	s_cmp_lt_i32 s12, s34
	v_cndmask_b32_e32 v1, v36, v1, vcc
	v_mul_lo_u32 v96, v84, s16
	v_add_u32_e32 v162, s38, v160
	s_cselect_b64 s[12:13], -1, 0
	v_lshlrev_b32_e32 v181, 2, v1
	v_add_u32_e32 v1, 0x80, v137
	s_ashr_i32 s17, s48, 31
	v_add_u32_e32 v98, s16, v96
	v_add_u32_e32 v164, s38, v162
	;; [unrolled: 1-line block ×3, first 2 shown]
	v_lshrrev_b32_e32 v88, 5, v1
	v_and_b32_e32 v90, 28, v1
	v_mov_b32_e32 v1, s17
	v_add_co_u32_e32 v36, vcc, s48, v84
	v_add_u32_e32 v100, s16, v98
	v_add_u32_e32 v166, s38, v164
	v_cmp_eq_u32_e64 s[20:21], 0, v32
	s_and_b64 s[46:47], s[10:11], s[12:13]
	v_ashrrev_i32_e32 v35, 31, v34
	v_cmp_eq_u32_e64 s[10:11], 1, v32
	v_cmp_eq_u32_e64 s[12:13], 2, v32
	;; [unrolled: 1-line block ×3, first 2 shown]
	v_addc_co_u32_e32 v37, vcc, 0, v1, vcc
	v_mov_b32_e32 v32, 0xfeffffff
	v_add_u32_e32 v102, s16, v100
	v_add_u32_e32 v168, s38, v166
	v_mov_b32_e32 v49, 0
	v_or_b32_e32 v143, 16, v50
	s_mul_i32 s51, s44, s16
	s_mul_i32 s52, s44, s38
	v_add_f32_e32 v151, v3, v3
	v_add_f32_e32 v153, v5, v5
	;; [unrolled: 1-line block ×15, first 2 shown]
	v_lshlrev_b32_e32 v182, 1, v33
	s_mov_b32 s48, 0x1000706
	s_mov_b32 s53, 0x3f200000
	;; [unrolled: 1-line block ×5, first 2 shown]
	s_brev_b32 s57, -2
	v_lshlrev_b64 v[92:93], 1, v[34:35]
	v_lshlrev_b64 v[94:95], 1, v[36:37]
	v_mov_b32_e32 v48, 0
	v_mov_b32_e32 v33, v32
	;; [unrolled: 1-line block ×6, first 2 shown]
	v_ashrrev_i32_e32 v1, 31, v96
	v_ashrrev_i32_e32 v3, 31, v98
	;; [unrolled: 1-line block ×5, first 2 shown]
	v_bfe_u32 v104, v127, 3, 27
	v_and_b32_e32 v106, 28, v137
	v_ashrrev_i32_e32 v11, 31, v108
	v_ashrrev_i32_e32 v13, 31, v110
	v_ashrrev_i32_e32 v15, 31, v112
	v_ashrrev_i32_e32 v17, 31, v114
	v_ashrrev_i32_e32 v19, 31, v116
	v_ashrrev_i32_e32 v21, 31, v118
	v_ashrrev_i32_e32 v23, 31, v120
	v_ashrrev_i32_e32 v25, 31, v122
	v_ashrrev_i32_e32 v27, 31, v124
	v_ashrrev_i32_e32 v29, 31, v126
	v_ashrrev_i32_e32 v31, 31, v128
	v_ashrrev_i32_e32 v51, 31, v130
	v_ashrrev_i32_e32 v85, 31, v132
	v_ashrrev_i32_e32 v87, 31, v134
	v_ashrrev_i32_e32 v89, 31, v136
	v_ashrrev_i32_e32 v91, 31, v138
	v_ashrrev_i32_e32 v97, 31, v140
	v_ashrrev_i32_e32 v99, 31, v142
	v_ashrrev_i32_e32 v101, 31, v144
	v_ashrrev_i32_e32 v103, 31, v146
	v_ashrrev_i32_e32 v105, 31, v148
	v_ashrrev_i32_e32 v107, 31, v150
	v_ashrrev_i32_e32 v109, 31, v152
	v_ashrrev_i32_e32 v111, 31, v154
	v_ashrrev_i32_e32 v113, 31, v156
	v_ashrrev_i32_e32 v115, 31, v158
	v_ashrrev_i32_e32 v117, 31, v160
	v_ashrrev_i32_e32 v119, 31, v162
	v_ashrrev_i32_e32 v121, 31, v164
	v_ashrrev_i32_e32 v123, 31, v166
	v_ashrrev_i32_e32 v125, 31, v168
                                        ; implicit-def: $vgpr170
	s_branch .LBB31_22
.LBB31_21:                              ;   in Loop: Header=BB31_22 Depth=1
	buffer_load_dword v190, off, s[0:3], 0
	buffer_load_dword v191, off, s[0:3], 0 offset:4
	buffer_load_dword v192, off, s[0:3], 0 offset:8
	;; [unrolled: 1-line block ×3, first 2 shown]
	v_cndmask_b32_e64 v38, v171, v37, s[20:21]
	v_add_f32_e32 v37, 0x40051340, v37
	v_add_f32_e32 v45, 0x40051340, v40
	v_cndmask_b32_e64 v35, v170, v36, s[20:21]
	v_add_f32_e32 v36, 0x40051340, v36
	v_add_f32_e32 v43, 0x40051340, v39
	v_max3_f32 v37, v33, v37, v45
	v_add_f32_e32 v45, 0x40051340, v42
	v_add_f32_e32 v46, 0x40051340, v34
	v_max3_f32 v36, v32, v36, v43
	;; [unrolled: 3-line block ×3, first 2 shown]
	ds_bpermute_b32 v45, v179, v37
	v_max3_f32 v36, v36, v43, v44
	ds_bpermute_b32 v43, v179, v36
	buffer_load_dword v194, off, s[0:3], 0 offset:16
	buffer_load_dword v195, off, s[0:3], 0 offset:24
	v_cndmask_b32_e64 v35, v35, v39, s[10:11]
	s_waitcnt lgkmcnt(1)
	v_max_f32_e32 v39, v45, v45
	v_max_f32_e32 v37, v37, v39
	s_waitcnt lgkmcnt(0)
	v_max_f32_e32 v39, v43, v43
	v_cndmask_b32_e64 v38, v38, v40, s[10:11]
	ds_bpermute_b32 v40, v180, v37
	v_max_f32_e32 v36, v36, v39
	ds_bpermute_b32 v39, v180, v36
	v_cndmask_b32_e64 v41, v35, v41, s[12:13]
	v_cndmask_b32_e64 v35, v38, v42, s[12:13]
	s_waitcnt lgkmcnt(1)
	v_max_f32_e32 v38, v40, v40
	v_max_f32_e32 v37, v37, v38
	s_waitcnt lgkmcnt(0)
	v_max_f32_e32 v38, v39, v39
	ds_bpermute_b32 v39, v181, v37
	v_max_f32_e32 v36, v36, v38
	ds_bpermute_b32 v38, v181, v36
	v_cndmask_b32_e64 v35, v35, v34, s[14:15]
	v_cndmask_b32_e64 v34, v41, v202, s[14:15]
	s_waitcnt lgkmcnt(1)
	v_max_f32_e32 v39, v39, v39
	v_max_f32_e32 v173, v37, v39
	s_waitcnt lgkmcnt(0)
	v_max_f32_e32 v37, v38, v38
	v_max_f32_e32 v172, v36, v37
	v_pk_add_f32 v[34:35], v[34:35], v[172:173] neg_lo:[0,1] neg_hi:[0,1]
	v_mul_f32_e32 v36, 0x3fb8aa3b, v35
	v_fma_f32 v37, v35, s54, -v36
	v_rndne_f32_e32 v38, v36
	v_fmac_f32_e32 v37, 0x32a5705f, v35
	v_sub_f32_e32 v36, v36, v38
	v_add_f32_e32 v36, v36, v37
	v_cvt_i32_f32_e32 v37, v38
	v_mul_f32_e32 v38, 0x3fb8aa3b, v34
	v_fma_f32 v39, v34, s54, -v38
	v_rndne_f32_e32 v40, v38
	v_fmac_f32_e32 v39, 0x32a5705f, v34
	v_sub_f32_e32 v38, v38, v40
	v_exp_f32_e32 v36, v36
	v_add_f32_e32 v38, v38, v39
	v_exp_f32_e32 v38, v38
	v_cvt_i32_f32_e32 v39, v40
	v_ldexp_f32 v36, v36, v37
	v_cmp_ngt_f32_e32 vcc, s55, v35
	v_cndmask_b32_e32 v171, 0, v36, vcc
	v_ldexp_f32 v36, v38, v39
	v_cmp_ngt_f32_e32 vcc, s55, v34
	v_cndmask_b32_e32 v36, 0, v36, vcc
	v_cmp_nlt_f32_e32 vcc, s56, v34
	v_pk_add_f32 v[32:33], v[32:33], v[172:173] neg_lo:[0,1] neg_hi:[0,1]
	v_cndmask_b32_e32 v170, v186, v36, vcc
	v_mul_f32_e32 v36, 0x3fb8aa3b, v33
	v_fma_f32 v37, v33, s54, -v36
	v_rndne_f32_e32 v38, v36
	v_fmac_f32_e32 v37, 0x32a5705f, v33
	v_sub_f32_e32 v36, v36, v38
	v_add_f32_e32 v36, v36, v37
	v_exp_f32_e32 v196, v36
	v_mul_f32_e32 v36, 0x3fb8aa3b, v32
	v_rndne_f32_e32 v201, v36
	v_fma_f32 v200, v32, s54, -v36
	v_sub_f32_e32 v202, v36, v201
	v_mov_b32_e32 v187, s27
	v_add_co_u32_e32 v36, vcc, s8, v86
	v_addc_co_u32_e32 v37, vcc, v187, v9, vcc
	v_cvt_i32_f32_e32 v199, v38
	v_mad_u64_u32 v[38:39], s[16:17], v104, 34, v[36:37]
	v_add_co_u32_e32 v40, vcc, v38, v106
	v_addc_co_u32_e32 v41, vcc, 0, v39, vcc
	v_mad_u64_u32 v[36:37], s[16:17], v88, 34, v[36:37]
	buffer_load_dword v197, off, s[0:3], 0 offset:20
	buffer_load_dword v198, off, s[0:3], 0 offset:28
	global_load_dword v203, v[40:41], off offset:2
	v_add_co_u32_e32 v40, vcc, v36, v90
	v_addc_co_u32_e32 v41, vcc, 0, v37, vcc
	v_add_co_u32_e32 v42, vcc, s8, v108
	v_addc_co_u32_e32 v43, vcc, v187, v11, vcc
	v_mad_u64_u32 v[44:45], s[16:17], v104, 34, v[42:43]
	v_add_co_u32_e32 v46, vcc, v44, v106
	v_addc_co_u32_e32 v47, vcc, 0, v45, vcc
	v_mad_u64_u32 v[42:43], s[16:17], v88, 34, v[42:43]
	v_add_co_u32_e32 v188, vcc, v42, v90
	v_fmac_f32_e32 v200, 0x32a5705f, v32
	v_addc_co_u32_e32 v189, vcc, 0, v43, vcc
	global_load_dword v188, v[188:189], off offset:2
	s_nop 0
	global_load_ushort v189, v[42:43], off
	global_load_dword v204, v[46:47], off offset:2
	global_load_ushort v205, v[44:45], off
	global_load_dword v206, v[40:41], off offset:2
	global_load_ushort v207, v[36:37], off
	global_load_ushort v208, v[38:39], off
	v_add_f32_e32 v36, v202, v200
	v_exp_f32_e32 v36, v36
	v_cvt_i32_f32_e32 v37, v201
	v_cmp_nlt_f32_e32 vcc, s56, v35
	v_cndmask_b32_e32 v171, v186, v171, vcc
	v_cmp_ngt_f32_e32 vcc, s55, v32
	v_ldexp_f32 v35, v36, v37
	v_cvt_f16_f32_e32 v34, v170
	v_cndmask_b32_e32 v35, 0, v35, vcc
	v_cmp_nlt_f32_e32 vcc, s56, v32
	v_cndmask_b32_e32 v32, v186, v35, vcc
	v_cvt_f16_f32_e32 v35, v32
	ds_write_b16 v135, v34
	v_ldexp_f32 v34, v196, v199
	v_cmp_ngt_f32_e32 vcc, s55, v33
	v_cndmask_b32_e32 v34, 0, v34, vcc
	v_cmp_nlt_f32_e32 vcc, s56, v33
	v_cndmask_b32_e32 v33, v186, v34, vcc
	s_waitcnt vmcnt(15)
	v_pk_mul_f16 v190, v35, v190 op_sel_hi:[0,1]
	s_waitcnt vmcnt(14)
	v_pk_mul_f16 v191, v35, v191 op_sel_hi:[0,1]
	;; [unrolled: 2-line block ×4, first 2 shown]
	v_cvt_f16_f32_e32 v35, v171
	v_pk_fma_f32 v[48:49], v[48:49], v[32:33], v[170:171]
	v_add_co_u32_e32 v32, vcc, s8, v110
	v_cvt_f16_f32_e32 v193, v33
	v_addc_co_u32_e32 v33, vcc, v187, v13, vcc
	buffer_store_dword v34, off, s[0:3], 0 offset:12
	ds_write_b16 v135, v35 offset:256
	v_mad_u64_u32 v[34:35], s[16:17], v104, 34, v[32:33]
	buffer_load_dword v196, off, s[0:3], 0 offset:12
	v_add_co_u32_e32 v36, vcc, v34, v106
	v_addc_co_u32_e32 v37, vcc, 0, v35, vcc
	v_mad_u64_u32 v[32:33], s[16:17], v88, 34, v[32:33]
	global_load_dword v199, v[36:37], off offset:2
	v_add_co_u32_e32 v36, vcc, v32, v90
	v_addc_co_u32_e32 v37, vcc, 0, v33, vcc
	v_add_co_u32_e32 v38, vcc, s8, v112
	v_addc_co_u32_e32 v39, vcc, v187, v15, vcc
	v_mad_u64_u32 v[40:41], s[16:17], v104, 34, v[38:39]
	v_add_co_u32_e32 v42, vcc, v40, v106
	v_addc_co_u32_e32 v43, vcc, 0, v41, vcc
	v_mad_u64_u32 v[38:39], s[16:17], v88, 34, v[38:39]
	s_waitcnt vmcnt(13)
	v_pk_mul_f16 v195, v193, v195 op_sel_hi:[0,1]
	v_add_co_u32_e32 v44, vcc, v38, v90
	buffer_store_dword v190, off, s[0:3], 0
	buffer_store_dword v191, off, s[0:3], 0 offset:4
	buffer_store_dword v192, off, s[0:3], 0 offset:8
	;; [unrolled: 1-line block ×3, first 2 shown]
	v_addc_co_u32_e32 v45, vcc, 0, v39, vcc
	global_load_dword v202, v[44:45], off offset:2
	global_load_ushort v209, v[38:39], off
	global_load_dword v210, v[42:43], off offset:2
	global_load_ushort v211, v[40:41], off
	;; [unrolled: 2-line block ×3, first 2 shown]
	global_load_ushort v212, v[34:35], off
	ds_read_b128 v[40:43], v182 offset:256
	ds_read_b128 v[44:47], v182
	ds_read_b128 v[36:39], v182 offset:16
	s_waitcnt vmcnt(21)
	v_cvt_f16_i16_sdwa v33, sext(v203) dst_sel:DWORD dst_unused:UNUSED_PAD src0_sel:BYTE_0
	v_cvt_f16_i16_sdwa v34, sext(v203) dst_sel:DWORD dst_unused:UNUSED_PAD src0_sel:BYTE_1
	v_lshrrev_b32_e32 v32, 16, v203
	v_pack_b32_f16 v33, v33, v34
	v_pk_mul_f16 v198, v193, v198 op_sel_hi:[0,1]
	buffer_store_dword v198, off, s[0:3], 0 offset:28
	s_add_i32 s26, s44, s26
	s_add_u32 s42, s42, s51
	s_addc_u32 s49, s49, 0
	s_waitcnt vmcnt(15)
	v_pk_mul_f16 v203, v33, v208 op_sel_hi:[1,0]
	v_cvt_f16_i16_sdwa v33, sext(v32) dst_sel:DWORD dst_unused:UNUSED_PAD src0_sel:BYTE_0
	v_cvt_f16_i16_sdwa v32, sext(v32) dst_sel:DWORD dst_unused:UNUSED_PAD src0_sel:BYTE_1
	v_pack_b32_f16 v32, v33, v32
	v_pk_mul_f16 v208, v208, v32 op_sel_hi:[0,1]
	s_waitcnt lgkmcnt(1)
	v_pk_fma_f16 v190, v203, v44, v190 op_sel_hi:[1,0,1]
	ds_read_b128 v[32:35], v182 offset:272
	v_pk_mul_f16 v203, v203, v40 op_sel_hi:[1,0]
	v_pk_fma_f16 v194, v193, v194, v203 op_sel_hi:[0,1,1]
	v_pk_mul_f16 v203, v208, v40 op_sel_hi:[1,0]
	v_pk_fma_f16 v193, v193, v197, v203 op_sel_hi:[0,1,1]
	v_lshrrev_b32_e32 v197, 16, v206
	v_cvt_f16_i16_sdwa v203, sext(v206) dst_sel:DWORD dst_unused:UNUSED_PAD src0_sel:BYTE_0
	v_cvt_f16_i16_sdwa v206, sext(v206) dst_sel:DWORD dst_unused:UNUSED_PAD src0_sel:BYTE_1
	v_pack_b32_f16 v203, v203, v206
	v_cvt_f16_i16_sdwa v206, sext(v197) dst_sel:DWORD dst_unused:UNUSED_PAD src0_sel:BYTE_0
	v_cvt_f16_i16_sdwa v197, sext(v197) dst_sel:DWORD dst_unused:UNUSED_PAD src0_sel:BYTE_1
	v_pack_b32_f16 v197, v206, v197
	v_pk_mul_f16 v203, v203, v207 op_sel_hi:[1,0]
	v_pk_mul_f16 v197, v207, v197 op_sel_hi:[0,1]
	v_pk_fma_f16 v192, v203, v44, v192 op_sel_hi:[1,0,1]
	v_pk_fma_f16 v195, v203, v40, v195 op_sel_hi:[1,0,1]
	v_cvt_f16_i16_sdwa v203, sext(v204) dst_sel:DWORD dst_unused:UNUSED_PAD src0_sel:BYTE_0
	v_pk_fma_f16 v191, v208, v44, v191 op_sel_hi:[1,0,1]
	buffer_store_dword v190, off, s[0:3], 0
	buffer_store_dword v194, off, s[0:3], 0 offset:16
	buffer_store_dword v191, off, s[0:3], 0 offset:4
	;; [unrolled: 1-line block ×5, first 2 shown]
	s_waitcnt vmcnt(19)
	v_pk_fma_f16 v196, v197, v44, v196 op_sel_hi:[1,0,1]
	v_pk_fma_f16 v197, v197, v40, v198 op_sel_hi:[1,0,1]
	v_lshrrev_b32_e32 v198, 16, v204
	v_cvt_f16_i16_sdwa v204, sext(v204) dst_sel:DWORD dst_unused:UNUSED_PAD src0_sel:BYTE_1
	v_pack_b32_f16 v203, v203, v204
	v_cvt_f16_i16_sdwa v204, sext(v198) dst_sel:DWORD dst_unused:UNUSED_PAD src0_sel:BYTE_0
	v_cvt_f16_i16_sdwa v198, sext(v198) dst_sel:DWORD dst_unused:UNUSED_PAD src0_sel:BYTE_1
	v_pack_b32_f16 v198, v204, v198
	v_pk_mul_f16 v203, v203, v205 op_sel_hi:[1,0]
	v_pk_mul_f16 v198, v205, v198 op_sel_hi:[0,1]
	v_pk_fma_f16 v190, v203, v44, v190 op_sel:[0,1,0]
	v_pk_fma_f16 v194, v203, v40, v194 op_sel:[0,1,0]
	;; [unrolled: 1-line block ×4, first 2 shown]
	v_lshrrev_b32_e32 v198, 16, v188
	v_cvt_f16_i16_sdwa v203, sext(v188) dst_sel:DWORD dst_unused:UNUSED_PAD src0_sel:BYTE_0
	v_cvt_f16_i16_sdwa v188, sext(v188) dst_sel:DWORD dst_unused:UNUSED_PAD src0_sel:BYTE_1
	v_pack_b32_f16 v188, v203, v188
	v_cvt_f16_i16_sdwa v203, sext(v198) dst_sel:DWORD dst_unused:UNUSED_PAD src0_sel:BYTE_0
	v_cvt_f16_i16_sdwa v198, sext(v198) dst_sel:DWORD dst_unused:UNUSED_PAD src0_sel:BYTE_1
	v_pack_b32_f16 v198, v203, v198
	v_pk_mul_f16 v188, v188, v189 op_sel_hi:[1,0]
	v_pk_mul_f16 v189, v189, v198 op_sel_hi:[0,1]
	buffer_store_dword v196, off, s[0:3], 0 offset:12
	v_pk_fma_f16 v192, v188, v44, v192 op_sel:[0,1,0]
	v_pk_fma_f16 v188, v188, v40, v195 op_sel:[0,1,0]
	;; [unrolled: 1-line block ×4, first 2 shown]
	s_waitcnt vmcnt(19)
	v_lshrrev_b32_e32 v189, 16, v199
	v_cvt_f16_i16_sdwa v195, sext(v199) dst_sel:DWORD dst_unused:UNUSED_PAD src0_sel:BYTE_0
	v_cvt_f16_i16_sdwa v196, sext(v199) dst_sel:DWORD dst_unused:UNUSED_PAD src0_sel:BYTE_1
	v_pack_b32_f16 v195, v195, v196
	v_cvt_f16_i16_sdwa v196, sext(v189) dst_sel:DWORD dst_unused:UNUSED_PAD src0_sel:BYTE_0
	v_cvt_f16_i16_sdwa v189, sext(v189) dst_sel:DWORD dst_unused:UNUSED_PAD src0_sel:BYTE_1
	v_pack_b32_f16 v189, v196, v189
	s_waitcnt vmcnt(8)
	v_pk_mul_f16 v195, v195, v212 op_sel_hi:[1,0]
	v_pk_mul_f16 v189, v212, v189 op_sel_hi:[0,1]
	buffer_store_dword v190, off, s[0:3], 0
	buffer_store_dword v191, off, s[0:3], 0 offset:4
	v_pk_fma_f16 v203, v195, v45, v190 op_sel_hi:[1,0,1]
	v_pk_fma_f16 v205, v189, v45, v191 op_sel_hi:[1,0,1]
	;; [unrolled: 1-line block ×3, first 2 shown]
	v_lshrrev_b32_e32 v189, 16, v200
	v_cvt_f16_i16_sdwa v190, sext(v200) dst_sel:DWORD dst_unused:UNUSED_PAD src0_sel:BYTE_0
	v_cvt_f16_i16_sdwa v191, sext(v200) dst_sel:DWORD dst_unused:UNUSED_PAD src0_sel:BYTE_1
	v_pack_b32_f16 v190, v190, v191
	v_cvt_f16_i16_sdwa v191, sext(v189) dst_sel:DWORD dst_unused:UNUSED_PAD src0_sel:BYTE_0
	v_cvt_f16_i16_sdwa v189, sext(v189) dst_sel:DWORD dst_unused:UNUSED_PAD src0_sel:BYTE_1
	v_pk_mul_f16 v190, v190, v201 op_sel_hi:[1,0]
	v_pack_b32_f16 v189, v191, v189
	buffer_store_dword v188, off, s[0:3], 0 offset:24
	v_pk_mul_f16 v189, v201, v189 op_sel_hi:[0,1]
	v_pk_fma_f16 v208, v190, v41, v188 op_sel_hi:[1,0,1]
	v_add_co_u32_e32 v188, vcc, s8, v114
	buffer_store_dword v197, off, s[0:3], 0 offset:28
	buffer_store_dword v44, off, s[0:3], 0 offset:12
	;; [unrolled: 1-line block ×3, first 2 shown]
	v_pk_fma_f16 v44, v189, v45, v44 op_sel_hi:[1,0,1]
	v_pk_fma_f16 v40, v189, v41, v40 op_sel_hi:[1,0,1]
	v_addc_co_u32_e32 v189, vcc, v187, v17, vcc
	v_pk_fma_f16 v207, v190, v45, v192 op_sel_hi:[1,0,1]
	v_mad_u64_u32 v[190:191], s[16:17], v104, 34, v[188:189]
	buffer_store_dword v192, off, s[0:3], 0 offset:8
	v_add_co_u32_e32 v192, vcc, v190, v106
	buffer_store_dword v193, off, s[0:3], 0 offset:20
	v_addc_co_u32_e32 v193, vcc, 0, v191, vcc
	v_mad_u64_u32 v[188:189], s[16:17], v88, 34, v[188:189]
	global_load_dword v212, v[192:193], off offset:2
	v_add_co_u32_e32 v192, vcc, v188, v90
	v_addc_co_u32_e32 v193, vcc, 0, v189, vcc
	buffer_store_dword v194, off, s[0:3], 0 offset:16
	v_pk_fma_f16 v204, v195, v41, v194 op_sel_hi:[1,0,1]
	v_add_co_u32_e32 v194, vcc, s8, v116
	v_addc_co_u32_e32 v195, vcc, v187, v19, vcc
	v_mad_u64_u32 v[196:197], s[16:17], v104, 34, v[194:195]
	v_add_co_u32_e32 v198, vcc, v196, v106
	v_addc_co_u32_e32 v199, vcc, 0, v197, vcc
	v_mad_u64_u32 v[194:195], s[16:17], v88, 34, v[194:195]
	v_add_co_u32_e32 v200, vcc, v194, v90
	buffer_store_dword v203, off, s[0:3], 0
	buffer_store_dword v204, off, s[0:3], 0 offset:16
	buffer_store_dword v205, off, s[0:3], 0 offset:4
	;; [unrolled: 1-line block ×6, first 2 shown]
	v_addc_co_u32_e32 v201, vcc, 0, v195, vcc
	global_load_dword v213, v[200:201], off offset:2
	global_load_ushort v214, v[194:195], off
	global_load_dword v215, v[198:199], off offset:2
	global_load_ushort v216, v[196:197], off
	;; [unrolled: 2-line block ×3, first 2 shown]
	global_load_ushort v219, v[190:191], off
	v_lshrrev_b32_e32 v188, 16, v210
	v_cvt_f16_i16_sdwa v189, sext(v210) dst_sel:DWORD dst_unused:UNUSED_PAD src0_sel:BYTE_0
	v_cvt_f16_i16_sdwa v190, sext(v210) dst_sel:DWORD dst_unused:UNUSED_PAD src0_sel:BYTE_1
	v_pack_b32_f16 v189, v189, v190
	v_cvt_f16_i16_sdwa v190, sext(v188) dst_sel:DWORD dst_unused:UNUSED_PAD src0_sel:BYTE_0
	v_cvt_f16_i16_sdwa v188, sext(v188) dst_sel:DWORD dst_unused:UNUSED_PAD src0_sel:BYTE_1
	v_pk_mul_f16 v189, v189, v211 op_sel_hi:[1,0]
	v_pack_b32_f16 v188, v190, v188
	v_pk_mul_f16 v188, v211, v188 op_sel_hi:[0,1]
	v_pk_fma_f16 v203, v189, v45, v203 op_sel:[0,1,0]
	v_pk_fma_f16 v204, v189, v41, v204 op_sel:[0,1,0]
	v_cvt_f16_i16_sdwa v189, sext(v202) dst_sel:DWORD dst_unused:UNUSED_PAD src0_sel:BYTE_0
	v_cvt_f16_i16_sdwa v190, sext(v202) dst_sel:DWORD dst_unused:UNUSED_PAD src0_sel:BYTE_1
	v_pk_fma_f16 v205, v188, v45, v205 op_sel:[0,1,0]
	v_pk_fma_f16 v206, v188, v41, v206 op_sel:[0,1,0]
	v_lshrrev_b32_e32 v188, 16, v202
	v_pack_b32_f16 v189, v189, v190
	v_pk_mul_f16 v202, v189, v209 op_sel_hi:[1,0]
	v_cvt_f16_i16_sdwa v189, sext(v188) dst_sel:DWORD dst_unused:UNUSED_PAD src0_sel:BYTE_0
	v_cvt_f16_i16_sdwa v188, sext(v188) dst_sel:DWORD dst_unused:UNUSED_PAD src0_sel:BYTE_1
	v_pack_b32_f16 v188, v189, v188
	v_pk_mul_f16 v209, v209, v188 op_sel_hi:[0,1]
	v_add_co_u32_e32 v188, vcc, s8, v118
	v_addc_co_u32_e32 v189, vcc, v187, v21, vcc
	v_mad_u64_u32 v[190:191], s[16:17], v104, 34, v[188:189]
	v_add_co_u32_e32 v192, vcc, v190, v106
	v_addc_co_u32_e32 v193, vcc, 0, v191, vcc
	v_mad_u64_u32 v[188:189], s[16:17], v88, 34, v[188:189]
	global_load_dword v210, v[192:193], off offset:2
	v_add_co_u32_e32 v192, vcc, v188, v90
	v_addc_co_u32_e32 v193, vcc, 0, v189, vcc
	v_add_co_u32_e32 v194, vcc, s8, v120
	v_addc_co_u32_e32 v195, vcc, v187, v23, vcc
	v_mad_u64_u32 v[196:197], s[16:17], v104, 34, v[194:195]
	v_add_co_u32_e32 v198, vcc, v196, v106
	v_addc_co_u32_e32 v199, vcc, 0, v197, vcc
	v_mad_u64_u32 v[194:195], s[16:17], v88, 34, v[194:195]
	v_add_co_u32_e32 v200, vcc, v194, v90
	buffer_store_dword v40, off, s[0:3], 0 offset:28
	buffer_store_dword v203, off, s[0:3], 0
	buffer_store_dword v204, off, s[0:3], 0 offset:16
	buffer_store_dword v205, off, s[0:3], 0 offset:4
	;; [unrolled: 1-line block ×3, first 2 shown]
	v_addc_co_u32_e32 v201, vcc, 0, v195, vcc
	global_load_dword v200, v[200:201], off offset:2
	s_nop 0
	global_load_ushort v201, v[194:195], off
	s_nop 0
	global_load_dword v198, v[198:199], off offset:2
	s_nop 0
	global_load_ushort v199, v[196:197], off
	s_nop 0
	global_load_dword v192, v[192:193], off offset:2
	s_nop 0
	global_load_ushort v188, v[188:189], off
	s_nop 0
	global_load_ushort v189, v[190:191], off
	v_pk_fma_f16 v207, v202, v45, v207 op_sel:[0,1,0]
	v_pk_fma_f16 v190, v202, v41, v208 op_sel:[0,1,0]
	;; [unrolled: 1-line block ×4, first 2 shown]
	s_waitcnt vmcnt(28)
	v_lshrrev_b32_e32 v41, 16, v212
	v_cvt_f16_i16_sdwa v45, sext(v212) dst_sel:DWORD dst_unused:UNUSED_PAD src0_sel:BYTE_0
	v_cvt_f16_i16_sdwa v191, sext(v212) dst_sel:DWORD dst_unused:UNUSED_PAD src0_sel:BYTE_1
	buffer_store_dword v190, off, s[0:3], 0 offset:24
	buffer_store_dword v44, off, s[0:3], 0 offset:12
	;; [unrolled: 1-line block ×3, first 2 shown]
	v_pack_b32_f16 v45, v45, v191
	v_cvt_f16_i16_sdwa v191, sext(v41) dst_sel:DWORD dst_unused:UNUSED_PAD src0_sel:BYTE_0
	v_cvt_f16_i16_sdwa v41, sext(v41) dst_sel:DWORD dst_unused:UNUSED_PAD src0_sel:BYTE_1
	v_pack_b32_f16 v41, v191, v41
	s_waitcnt vmcnt(20)
	v_cvt_f16_i16_sdwa v197, sext(v215) dst_sel:DWORD dst_unused:UNUSED_PAD src0_sel:BYTE_1
	buffer_store_dword v207, off, s[0:3], 0 offset:8
	s_waitcnt vmcnt(19)
	v_lshrrev_b32_e32 v194, 16, v217
	v_cvt_f16_i16_sdwa v195, sext(v217) dst_sel:DWORD dst_unused:UNUSED_PAD src0_sel:BYTE_0
	v_cvt_f16_i16_sdwa v196, sext(v217) dst_sel:DWORD dst_unused:UNUSED_PAD src0_sel:BYTE_1
	v_pack_b32_f16 v195, v195, v196
	v_cvt_f16_i16_sdwa v196, sext(v194) dst_sel:DWORD dst_unused:UNUSED_PAD src0_sel:BYTE_0
	v_cvt_f16_i16_sdwa v194, sext(v194) dst_sel:DWORD dst_unused:UNUSED_PAD src0_sel:BYTE_1
	v_pack_b32_f16 v194, v196, v194
	s_waitcnt vmcnt(18)
	v_pk_mul_f16 v195, v195, v218 op_sel_hi:[1,0]
	v_pk_mul_f16 v194, v218, v194 op_sel_hi:[0,1]
	v_pk_fma_f16 v196, v195, v46, v207 op_sel_hi:[1,0,1]
	v_pk_fma_f16 v190, v195, v42, v190 op_sel_hi:[1,0,1]
	;; [unrolled: 1-line block ×4, first 2 shown]
	v_lshrrev_b32_e32 v194, 16, v215
	v_cvt_f16_i16_sdwa v195, sext(v215) dst_sel:DWORD dst_unused:UNUSED_PAD src0_sel:BYTE_0
	v_pack_b32_f16 v195, v195, v197
	v_cvt_f16_i16_sdwa v197, sext(v194) dst_sel:DWORD dst_unused:UNUSED_PAD src0_sel:BYTE_0
	v_cvt_f16_i16_sdwa v194, sext(v194) dst_sel:DWORD dst_unused:UNUSED_PAD src0_sel:BYTE_1
	s_waitcnt vmcnt(17)
	v_pk_mul_f16 v45, v45, v219 op_sel_hi:[1,0]
	v_pk_mul_f16 v41, v219, v41 op_sel_hi:[0,1]
	v_pack_b32_f16 v194, v197, v194
	v_pk_fma_f16 v191, v45, v46, v203 op_sel_hi:[1,0,1]
	v_pk_fma_f16 v45, v45, v42, v204 op_sel_hi:[1,0,1]
	;; [unrolled: 1-line block ×4, first 2 shown]
	v_pk_mul_f16 v195, v195, v216 op_sel_hi:[1,0]
	v_pk_mul_f16 v194, v216, v194 op_sel_hi:[0,1]
	buffer_store_dword v191, off, s[0:3], 0
	buffer_store_dword v45, off, s[0:3], 0 offset:16
	buffer_store_dword v193, off, s[0:3], 0 offset:4
	;; [unrolled: 1-line block ×3, first 2 shown]
	v_pk_fma_f16 v191, v195, v46, v191 op_sel:[0,1,0]
	v_pk_fma_f16 v45, v195, v42, v45 op_sel:[0,1,0]
	;; [unrolled: 1-line block ×4, first 2 shown]
	v_lshrrev_b32_e32 v194, 16, v213
	v_cvt_f16_i16_sdwa v195, sext(v213) dst_sel:DWORD dst_unused:UNUSED_PAD src0_sel:BYTE_0
	v_cvt_f16_i16_sdwa v197, sext(v213) dst_sel:DWORD dst_unused:UNUSED_PAD src0_sel:BYTE_1
	v_pack_b32_f16 v195, v195, v197
	v_cvt_f16_i16_sdwa v197, sext(v194) dst_sel:DWORD dst_unused:UNUSED_PAD src0_sel:BYTE_0
	v_cvt_f16_i16_sdwa v194, sext(v194) dst_sel:DWORD dst_unused:UNUSED_PAD src0_sel:BYTE_1
	v_pack_b32_f16 v194, v197, v194
	v_pk_mul_f16 v195, v195, v214 op_sel_hi:[1,0]
	v_pk_mul_f16 v194, v214, v194 op_sel_hi:[0,1]
	buffer_store_dword v196, off, s[0:3], 0 offset:8
	buffer_store_dword v190, off, s[0:3], 0 offset:24
	;; [unrolled: 1-line block ×4, first 2 shown]
	v_pk_fma_f16 v196, v195, v46, v196 op_sel:[0,1,0]
	v_pk_fma_f16 v190, v195, v42, v190 op_sel:[0,1,0]
	;; [unrolled: 1-line block ×4, first 2 shown]
	s_waitcnt vmcnt(24)
	v_lshrrev_b32_e32 v42, 16, v210
	v_cvt_f16_i16_sdwa v46, sext(v210) dst_sel:DWORD dst_unused:UNUSED_PAD src0_sel:BYTE_0
	v_cvt_f16_i16_sdwa v194, sext(v210) dst_sel:DWORD dst_unused:UNUSED_PAD src0_sel:BYTE_1
	v_pack_b32_f16 v46, v46, v194
	v_cvt_f16_i16_sdwa v194, sext(v42) dst_sel:DWORD dst_unused:UNUSED_PAD src0_sel:BYTE_0
	v_cvt_f16_i16_sdwa v42, sext(v42) dst_sel:DWORD dst_unused:UNUSED_PAD src0_sel:BYTE_1
	v_pack_b32_f16 v42, v194, v42
	buffer_store_dword v45, off, s[0:3], 0 offset:16
	buffer_store_dword v41, off, s[0:3], 0 offset:20
	;; [unrolled: 1-line block ×4, first 2 shown]
	s_waitcnt vmcnt(16)
	v_pk_mul_f16 v46, v46, v189 op_sel_hi:[1,0]
	v_pk_mul_f16 v42, v189, v42 op_sel_hi:[0,1]
	v_pk_fma_f16 v202, v46, v47, v191 op_sel_hi:[1,0,1]
	v_pk_fma_f16 v46, v46, v43, v45 op_sel_hi:[1,0,1]
	;; [unrolled: 1-line block ×4, first 2 shown]
	v_lshrrev_b32_e32 v41, 16, v192
	v_cvt_f16_i16_sdwa v45, sext(v192) dst_sel:DWORD dst_unused:UNUSED_PAD src0_sel:BYTE_0
	v_cvt_f16_i16_sdwa v189, sext(v192) dst_sel:DWORD dst_unused:UNUSED_PAD src0_sel:BYTE_1
	v_pack_b32_f16 v45, v45, v189
	v_cvt_f16_i16_sdwa v189, sext(v41) dst_sel:DWORD dst_unused:UNUSED_PAD src0_sel:BYTE_0
	v_cvt_f16_i16_sdwa v41, sext(v41) dst_sel:DWORD dst_unused:UNUSED_PAD src0_sel:BYTE_1
	v_pack_b32_f16 v41, v189, v41
	v_pk_mul_f16 v41, v188, v41 op_sel_hi:[0,1]
	v_pk_fma_f16 v207, v41, v43, v40 op_sel_hi:[1,0,1]
	v_add_co_u32_e32 v40, vcc, s8, v122
	v_pk_mul_f16 v45, v45, v188 op_sel_hi:[1,0]
	v_pk_fma_f16 v206, v41, v47, v44 op_sel_hi:[1,0,1]
	v_addc_co_u32_e32 v41, vcc, v187, v25, vcc
	v_pk_fma_f16 v204, v45, v47, v196 op_sel_hi:[1,0,1]
	v_pk_fma_f16 v205, v45, v43, v190 op_sel_hi:[1,0,1]
	v_mad_u64_u32 v[44:45], s[16:17], v104, 34, v[40:41]
	v_add_co_u32_e32 v188, vcc, v44, v106
	v_addc_co_u32_e32 v189, vcc, 0, v45, vcc
	v_mad_u64_u32 v[40:41], s[16:17], v88, 34, v[40:41]
	global_load_dword v208, v[188:189], off offset:2
	v_add_co_u32_e32 v188, vcc, v40, v90
	v_addc_co_u32_e32 v189, vcc, 0, v41, vcc
	buffer_store_dword v190, off, s[0:3], 0 offset:24
	v_add_co_u32_e32 v190, vcc, s8, v124
	buffer_store_dword v191, off, s[0:3], 0
	v_addc_co_u32_e32 v191, vcc, v187, v27, vcc
	buffer_store_dword v193, off, s[0:3], 0 offset:4
	v_mad_u64_u32 v[192:193], s[16:17], v104, 34, v[190:191]
	v_add_co_u32_e32 v194, vcc, v192, v106
	v_addc_co_u32_e32 v195, vcc, 0, v193, vcc
	v_mad_u64_u32 v[190:191], s[16:17], v88, 34, v[190:191]
	buffer_store_dword v196, off, s[0:3], 0 offset:8
	v_add_co_u32_e32 v196, vcc, v190, v90
	buffer_store_dword v202, off, s[0:3], 0
	buffer_store_dword v46, off, s[0:3], 0 offset:16
	buffer_store_dword v203, off, s[0:3], 0 offset:4
	;; [unrolled: 1-line block ×6, first 2 shown]
	v_addc_co_u32_e32 v197, vcc, 0, v191, vcc
	global_load_dword v209, v[196:197], off offset:2
	global_load_ushort v210, v[190:191], off
	global_load_dword v211, v[194:195], off offset:2
	global_load_ushort v212, v[192:193], off
	;; [unrolled: 2-line block ×3, first 2 shown]
	global_load_ushort v215, v[44:45], off
	v_lshrrev_b32_e32 v40, 16, v198
	v_cvt_f16_i16_sdwa v41, sext(v198) dst_sel:DWORD dst_unused:UNUSED_PAD src0_sel:BYTE_0
	v_cvt_f16_i16_sdwa v44, sext(v198) dst_sel:DWORD dst_unused:UNUSED_PAD src0_sel:BYTE_1
	v_pack_b32_f16 v41, v41, v44
	v_cvt_f16_i16_sdwa v44, sext(v40) dst_sel:DWORD dst_unused:UNUSED_PAD src0_sel:BYTE_0
	v_cvt_f16_i16_sdwa v40, sext(v40) dst_sel:DWORD dst_unused:UNUSED_PAD src0_sel:BYTE_1
	v_pk_mul_f16 v41, v41, v199 op_sel_hi:[1,0]
	v_pack_b32_f16 v40, v44, v40
	v_pk_mul_f16 v40, v199, v40 op_sel_hi:[0,1]
	v_pk_fma_f16 v198, v41, v47, v202 op_sel:[0,1,0]
	v_pk_fma_f16 v46, v41, v43, v46 op_sel:[0,1,0]
	v_cvt_f16_i16_sdwa v41, sext(v200) dst_sel:DWORD dst_unused:UNUSED_PAD src0_sel:BYTE_0
	v_cvt_f16_i16_sdwa v44, sext(v200) dst_sel:DWORD dst_unused:UNUSED_PAD src0_sel:BYTE_1
	v_pk_fma_f16 v199, v40, v47, v203 op_sel:[0,1,0]
	v_pk_fma_f16 v42, v40, v43, v42 op_sel:[0,1,0]
	v_lshrrev_b32_e32 v40, 16, v200
	v_pack_b32_f16 v41, v41, v44
	v_pk_mul_f16 v200, v41, v201 op_sel_hi:[1,0]
	v_cvt_f16_i16_sdwa v41, sext(v40) dst_sel:DWORD dst_unused:UNUSED_PAD src0_sel:BYTE_0
	v_cvt_f16_i16_sdwa v40, sext(v40) dst_sel:DWORD dst_unused:UNUSED_PAD src0_sel:BYTE_1
	v_pack_b32_f16 v40, v41, v40
	v_pk_mul_f16 v201, v201, v40 op_sel_hi:[0,1]
	v_add_co_u32_e32 v40, vcc, s8, v126
	v_addc_co_u32_e32 v41, vcc, v187, v29, vcc
	v_mad_u64_u32 v[44:45], s[16:17], v104, 34, v[40:41]
	v_add_co_u32_e32 v188, vcc, v44, v106
	v_addc_co_u32_e32 v189, vcc, 0, v45, vcc
	v_mad_u64_u32 v[40:41], s[16:17], v88, 34, v[40:41]
	global_load_dword v203, v[188:189], off offset:2
	v_add_co_u32_e32 v188, vcc, v40, v90
	v_addc_co_u32_e32 v189, vcc, 0, v41, vcc
	v_add_co_u32_e32 v190, vcc, s8, v128
	v_addc_co_u32_e32 v191, vcc, v187, v31, vcc
	v_mad_u64_u32 v[192:193], s[16:17], v104, 34, v[190:191]
	v_add_co_u32_e32 v194, vcc, v192, v106
	v_addc_co_u32_e32 v195, vcc, 0, v193, vcc
	v_mad_u64_u32 v[190:191], s[16:17], v88, 34, v[190:191]
	v_add_co_u32_e32 v196, vcc, v190, v90
	buffer_store_dword v207, off, s[0:3], 0 offset:28
	buffer_store_dword v198, off, s[0:3], 0
	buffer_store_dword v46, off, s[0:3], 0 offset:16
	buffer_store_dword v199, off, s[0:3], 0 offset:4
	;; [unrolled: 1-line block ×3, first 2 shown]
	v_addc_co_u32_e32 v197, vcc, 0, v191, vcc
	global_load_dword v196, v[196:197], off offset:2
	s_nop 0
	global_load_ushort v197, v[190:191], off
	s_nop 0
	global_load_dword v194, v[194:195], off offset:2
	s_nop 0
	global_load_ushort v195, v[192:193], off
	s_nop 0
	;; [unrolled: 4-line block ×3, first 2 shown]
	global_load_ushort v41, v[44:45], off
	v_pk_fma_f16 v202, v200, v47, v204 op_sel:[0,1,0]
	v_pk_fma_f16 v45, v201, v47, v206 op_sel:[0,1,0]
	s_waitcnt vmcnt(31)
	v_lshrrev_b32_e32 v47, 16, v208
	v_cvt_f16_i16_sdwa v189, sext(v208) dst_sel:DWORD dst_unused:UNUSED_PAD src0_sel:BYTE_0
	v_cvt_f16_i16_sdwa v190, sext(v208) dst_sel:DWORD dst_unused:UNUSED_PAD src0_sel:BYTE_1
	v_pack_b32_f16 v189, v189, v190
	v_cvt_f16_i16_sdwa v190, sext(v47) dst_sel:DWORD dst_unused:UNUSED_PAD src0_sel:BYTE_0
	v_cvt_f16_i16_sdwa v47, sext(v47) dst_sel:DWORD dst_unused:UNUSED_PAD src0_sel:BYTE_1
	v_pack_b32_f16 v47, v190, v47
	v_pk_fma_f16 v44, v200, v43, v205 op_sel:[0,1,0]
	v_pk_fma_f16 v43, v201, v43, v207 op_sel:[0,1,0]
	buffer_store_dword v44, off, s[0:3], 0 offset:24
	buffer_store_dword v45, off, s[0:3], 0 offset:12
	;; [unrolled: 1-line block ×3, first 2 shown]
	s_waitcnt vmcnt(20)
	v_cvt_f16_i16_sdwa v193, sext(v211) dst_sel:DWORD dst_unused:UNUSED_PAD src0_sel:BYTE_1
	buffer_store_dword v202, off, s[0:3], 0 offset:8
	s_waitcnt vmcnt(19)
	v_cvt_f16_i16_sdwa v191, sext(v213) dst_sel:DWORD dst_unused:UNUSED_PAD src0_sel:BYTE_0
	v_cvt_f16_i16_sdwa v192, sext(v213) dst_sel:DWORD dst_unused:UNUSED_PAD src0_sel:BYTE_1
	s_waitcnt vmcnt(17)
	v_pk_mul_f16 v189, v189, v215 op_sel_hi:[1,0]
	v_pk_mul_f16 v47, v215, v47 op_sel_hi:[0,1]
	s_waitcnt lgkmcnt(1)
	v_pk_fma_f16 v190, v189, v36, v198 op_sel_hi:[1,0,1]
	s_waitcnt lgkmcnt(0)
	v_pk_fma_f16 v46, v189, v32, v46 op_sel_hi:[1,0,1]
	v_pk_fma_f16 v189, v47, v36, v199 op_sel_hi:[1,0,1]
	;; [unrolled: 1-line block ×3, first 2 shown]
	v_lshrrev_b32_e32 v47, 16, v213
	v_pack_b32_f16 v191, v191, v192
	v_cvt_f16_i16_sdwa v192, sext(v47) dst_sel:DWORD dst_unused:UNUSED_PAD src0_sel:BYTE_0
	v_cvt_f16_i16_sdwa v47, sext(v47) dst_sel:DWORD dst_unused:UNUSED_PAD src0_sel:BYTE_1
	v_pack_b32_f16 v47, v192, v47
	v_pk_mul_f16 v191, v191, v214 op_sel_hi:[1,0]
	v_pk_mul_f16 v47, v214, v47 op_sel_hi:[0,1]
	v_pk_fma_f16 v192, v191, v36, v202 op_sel_hi:[1,0,1]
	v_pk_fma_f16 v44, v191, v32, v44 op_sel_hi:[1,0,1]
	v_pk_fma_f16 v45, v47, v36, v45 op_sel_hi:[1,0,1]
	v_pk_fma_f16 v43, v47, v32, v43 op_sel_hi:[1,0,1]
	v_lshrrev_b32_e32 v47, 16, v211
	v_cvt_f16_i16_sdwa v191, sext(v211) dst_sel:DWORD dst_unused:UNUSED_PAD src0_sel:BYTE_0
	v_pack_b32_f16 v191, v191, v193
	v_cvt_f16_i16_sdwa v193, sext(v47) dst_sel:DWORD dst_unused:UNUSED_PAD src0_sel:BYTE_0
	v_cvt_f16_i16_sdwa v47, sext(v47) dst_sel:DWORD dst_unused:UNUSED_PAD src0_sel:BYTE_1
	v_pack_b32_f16 v47, v193, v47
	v_pk_mul_f16 v191, v191, v212 op_sel_hi:[1,0]
	v_pk_mul_f16 v47, v212, v47 op_sel_hi:[0,1]
	buffer_store_dword v190, off, s[0:3], 0
	buffer_store_dword v46, off, s[0:3], 0 offset:16
	buffer_store_dword v189, off, s[0:3], 0 offset:4
	;; [unrolled: 1-line block ×3, first 2 shown]
	v_pk_fma_f16 v190, v191, v36, v190 op_sel:[0,1,0]
	v_pk_fma_f16 v46, v191, v32, v46 op_sel:[0,1,0]
	;; [unrolled: 1-line block ×4, first 2 shown]
	v_lshrrev_b32_e32 v47, 16, v209
	v_cvt_f16_i16_sdwa v191, sext(v209) dst_sel:DWORD dst_unused:UNUSED_PAD src0_sel:BYTE_0
	v_cvt_f16_i16_sdwa v193, sext(v209) dst_sel:DWORD dst_unused:UNUSED_PAD src0_sel:BYTE_1
	v_pack_b32_f16 v191, v191, v193
	v_cvt_f16_i16_sdwa v193, sext(v47) dst_sel:DWORD dst_unused:UNUSED_PAD src0_sel:BYTE_0
	v_cvt_f16_i16_sdwa v47, sext(v47) dst_sel:DWORD dst_unused:UNUSED_PAD src0_sel:BYTE_1
	v_pack_b32_f16 v47, v193, v47
	v_pk_mul_f16 v191, v191, v210 op_sel_hi:[1,0]
	v_pk_mul_f16 v47, v210, v47 op_sel_hi:[0,1]
	buffer_store_dword v192, off, s[0:3], 0 offset:8
	buffer_store_dword v44, off, s[0:3], 0 offset:24
	;; [unrolled: 1-line block ×4, first 2 shown]
	v_pk_fma_f16 v192, v191, v36, v192 op_sel:[0,1,0]
	v_pk_fma_f16 v44, v191, v32, v44 op_sel:[0,1,0]
	;; [unrolled: 1-line block ×4, first 2 shown]
	s_waitcnt vmcnt(24)
	v_lshrrev_b32_e32 v43, 16, v203
	v_cvt_f16_i16_sdwa v45, sext(v203) dst_sel:DWORD dst_unused:UNUSED_PAD src0_sel:BYTE_0
	v_cvt_f16_i16_sdwa v47, sext(v203) dst_sel:DWORD dst_unused:UNUSED_PAD src0_sel:BYTE_1
	v_pack_b32_f16 v45, v45, v47
	v_cvt_f16_i16_sdwa v47, sext(v43) dst_sel:DWORD dst_unused:UNUSED_PAD src0_sel:BYTE_0
	v_cvt_f16_i16_sdwa v43, sext(v43) dst_sel:DWORD dst_unused:UNUSED_PAD src0_sel:BYTE_1
	v_pack_b32_f16 v43, v47, v43
	buffer_store_dword v42, off, s[0:3], 0 offset:20
	buffer_store_dword v36, off, s[0:3], 0 offset:12
	;; [unrolled: 1-line block ×4, first 2 shown]
	s_waitcnt vmcnt(16)
	v_pk_mul_f16 v45, v45, v41 op_sel_hi:[1,0]
	v_pk_mul_f16 v41, v41, v43 op_sel_hi:[0,1]
	v_pk_fma_f16 v200, v41, v37, v189 op_sel_hi:[1,0,1]
	v_pk_fma_f16 v201, v41, v33, v42 op_sel_hi:[1,0,1]
	v_lshrrev_b32_e32 v41, 16, v188
	v_cvt_f16_i16_sdwa v42, sext(v188) dst_sel:DWORD dst_unused:UNUSED_PAD src0_sel:BYTE_0
	v_cvt_f16_i16_sdwa v43, sext(v188) dst_sel:DWORD dst_unused:UNUSED_PAD src0_sel:BYTE_1
	v_pack_b32_f16 v42, v42, v43
	v_cvt_f16_i16_sdwa v43, sext(v41) dst_sel:DWORD dst_unused:UNUSED_PAD src0_sel:BYTE_0
	v_cvt_f16_i16_sdwa v41, sext(v41) dst_sel:DWORD dst_unused:UNUSED_PAD src0_sel:BYTE_1
	v_pack_b32_f16 v41, v43, v41
	v_pk_mul_f16 v42, v42, v40 op_sel_hi:[1,0]
	v_pk_mul_f16 v40, v40, v41 op_sel_hi:[0,1]
	v_pk_fma_f16 v36, v40, v37, v36 op_sel_hi:[1,0,1]
	v_pk_fma_f16 v32, v40, v33, v32 op_sel_hi:[1,0,1]
	v_add_co_u32_e32 v40, vcc, s8, v130
	v_addc_co_u32_e32 v41, vcc, v187, v51, vcc
	v_pk_fma_f16 v202, v42, v37, v192 op_sel_hi:[1,0,1]
	v_pk_fma_f16 v203, v42, v33, v44 op_sel_hi:[1,0,1]
	v_mad_u64_u32 v[42:43], s[16:17], v104, 34, v[40:41]
	v_add_co_u32_e32 v44, vcc, v42, v106
	v_pk_fma_f16 v198, v45, v37, v190 op_sel_hi:[1,0,1]
	v_pk_fma_f16 v199, v45, v33, v46 op_sel_hi:[1,0,1]
	v_addc_co_u32_e32 v45, vcc, 0, v43, vcc
	v_mad_u64_u32 v[40:41], s[16:17], v88, 34, v[40:41]
	global_load_dword v204, v[44:45], off offset:2
	v_add_co_u32_e32 v44, vcc, v40, v90
	v_addc_co_u32_e32 v45, vcc, 0, v41, vcc
	buffer_store_dword v46, off, s[0:3], 0 offset:16
	v_add_co_u32_e32 v46, vcc, s8, v132
	v_addc_co_u32_e32 v47, vcc, v187, v85, vcc
	buffer_store_dword v189, off, s[0:3], 0 offset:4
	v_mad_u64_u32 v[188:189], s[16:17], v104, 34, v[46:47]
	buffer_store_dword v190, off, s[0:3], 0
	v_add_co_u32_e32 v190, vcc, v188, v106
	v_addc_co_u32_e32 v191, vcc, 0, v189, vcc
	v_mad_u64_u32 v[46:47], s[16:17], v88, 34, v[46:47]
	buffer_store_dword v192, off, s[0:3], 0 offset:8
	v_add_co_u32_e32 v192, vcc, v46, v90
	buffer_store_dword v198, off, s[0:3], 0
	buffer_store_dword v199, off, s[0:3], 0 offset:16
	buffer_store_dword v200, off, s[0:3], 0 offset:4
	;; [unrolled: 1-line block ×6, first 2 shown]
	v_addc_co_u32_e32 v193, vcc, 0, v47, vcc
	global_load_dword v205, v[192:193], off offset:2
	global_load_ushort v206, v[46:47], off
	global_load_dword v207, v[190:191], off offset:2
	global_load_ushort v208, v[188:189], off
	;; [unrolled: 2-line block ×3, first 2 shown]
	global_load_ushort v211, v[42:43], off
	v_lshrrev_b32_e32 v40, 16, v194
	v_cvt_f16_i16_sdwa v41, sext(v194) dst_sel:DWORD dst_unused:UNUSED_PAD src0_sel:BYTE_0
	v_cvt_f16_i16_sdwa v42, sext(v194) dst_sel:DWORD dst_unused:UNUSED_PAD src0_sel:BYTE_1
	v_pack_b32_f16 v41, v41, v42
	v_cvt_f16_i16_sdwa v42, sext(v40) dst_sel:DWORD dst_unused:UNUSED_PAD src0_sel:BYTE_0
	v_cvt_f16_i16_sdwa v40, sext(v40) dst_sel:DWORD dst_unused:UNUSED_PAD src0_sel:BYTE_1
	v_pk_mul_f16 v41, v41, v195 op_sel_hi:[1,0]
	v_pack_b32_f16 v40, v42, v40
	v_pk_mul_f16 v40, v195, v40 op_sel_hi:[0,1]
	v_pk_fma_f16 v194, v41, v37, v198 op_sel:[0,1,0]
	v_pk_fma_f16 v195, v41, v33, v199 op_sel:[0,1,0]
	v_cvt_f16_i16_sdwa v41, sext(v196) dst_sel:DWORD dst_unused:UNUSED_PAD src0_sel:BYTE_0
	v_cvt_f16_i16_sdwa v42, sext(v196) dst_sel:DWORD dst_unused:UNUSED_PAD src0_sel:BYTE_1
	v_pk_fma_f16 v198, v40, v37, v200 op_sel:[0,1,0]
	v_pk_fma_f16 v199, v40, v33, v201 op_sel:[0,1,0]
	v_lshrrev_b32_e32 v40, 16, v196
	v_pack_b32_f16 v41, v41, v42
	v_pk_mul_f16 v196, v41, v197 op_sel_hi:[1,0]
	v_cvt_f16_i16_sdwa v41, sext(v40) dst_sel:DWORD dst_unused:UNUSED_PAD src0_sel:BYTE_0
	v_cvt_f16_i16_sdwa v40, sext(v40) dst_sel:DWORD dst_unused:UNUSED_PAD src0_sel:BYTE_1
	v_pack_b32_f16 v40, v41, v40
	v_pk_mul_f16 v197, v197, v40 op_sel_hi:[0,1]
	v_add_co_u32_e32 v40, vcc, s8, v134
	v_addc_co_u32_e32 v41, vcc, v187, v87, vcc
	v_mad_u64_u32 v[42:43], s[16:17], v104, 34, v[40:41]
	v_add_co_u32_e32 v44, vcc, v42, v106
	v_addc_co_u32_e32 v45, vcc, 0, v43, vcc
	v_mad_u64_u32 v[40:41], s[16:17], v88, 34, v[40:41]
	global_load_dword v201, v[44:45], off offset:2
	v_add_co_u32_e32 v44, vcc, v40, v90
	v_addc_co_u32_e32 v45, vcc, 0, v41, vcc
	v_add_co_u32_e32 v46, vcc, s8, v136
	v_addc_co_u32_e32 v47, vcc, v187, v89, vcc
	v_mad_u64_u32 v[188:189], s[16:17], v104, 34, v[46:47]
	v_add_co_u32_e32 v190, vcc, v188, v106
	v_addc_co_u32_e32 v191, vcc, 0, v189, vcc
	v_mad_u64_u32 v[46:47], s[16:17], v88, 34, v[46:47]
	v_add_co_u32_e32 v192, vcc, v46, v90
	buffer_store_dword v32, off, s[0:3], 0 offset:28
	buffer_store_dword v194, off, s[0:3], 0
	buffer_store_dword v195, off, s[0:3], 0 offset:16
	buffer_store_dword v198, off, s[0:3], 0 offset:4
	;; [unrolled: 1-line block ×3, first 2 shown]
	v_addc_co_u32_e32 v193, vcc, 0, v47, vcc
	global_load_dword v192, v[192:193], off offset:2
	s_nop 0
	global_load_ushort v193, v[46:47], off
	s_nop 0
	global_load_dword v190, v[190:191], off offset:2
	s_nop 0
	global_load_ushort v191, v[188:189], off
	s_nop 0
	;; [unrolled: 4-line block ×3, first 2 shown]
	global_load_ushort v41, v[42:43], off
	v_pk_fma_f16 v200, v196, v37, v202 op_sel:[0,1,0]
	v_pk_fma_f16 v42, v196, v33, v203 op_sel:[0,1,0]
	;; [unrolled: 1-line block ×4, first 2 shown]
	s_waitcnt vmcnt(31)
	v_lshrrev_b32_e32 v33, 16, v204
	v_cvt_f16_i16_sdwa v37, sext(v204) dst_sel:DWORD dst_unused:UNUSED_PAD src0_sel:BYTE_0
	v_cvt_f16_i16_sdwa v43, sext(v204) dst_sel:DWORD dst_unused:UNUSED_PAD src0_sel:BYTE_1
	buffer_store_dword v42, off, s[0:3], 0 offset:24
	buffer_store_dword v36, off, s[0:3], 0 offset:12
	;; [unrolled: 1-line block ×3, first 2 shown]
	v_pack_b32_f16 v37, v37, v43
	v_cvt_f16_i16_sdwa v43, sext(v33) dst_sel:DWORD dst_unused:UNUSED_PAD src0_sel:BYTE_0
	v_cvt_f16_i16_sdwa v33, sext(v33) dst_sel:DWORD dst_unused:UNUSED_PAD src0_sel:BYTE_1
	v_pack_b32_f16 v33, v43, v33
	s_waitcnt vmcnt(20)
	v_cvt_f16_i16_sdwa v189, sext(v207) dst_sel:DWORD dst_unused:UNUSED_PAD src0_sel:BYTE_1
	buffer_store_dword v200, off, s[0:3], 0 offset:8
	s_waitcnt vmcnt(19)
	v_lshrrev_b32_e32 v46, 16, v209
	v_cvt_f16_i16_sdwa v47, sext(v209) dst_sel:DWORD dst_unused:UNUSED_PAD src0_sel:BYTE_0
	v_cvt_f16_i16_sdwa v188, sext(v209) dst_sel:DWORD dst_unused:UNUSED_PAD src0_sel:BYTE_1
	v_pack_b32_f16 v47, v47, v188
	v_cvt_f16_i16_sdwa v188, sext(v46) dst_sel:DWORD dst_unused:UNUSED_PAD src0_sel:BYTE_0
	v_cvt_f16_i16_sdwa v46, sext(v46) dst_sel:DWORD dst_unused:UNUSED_PAD src0_sel:BYTE_1
	v_pack_b32_f16 v46, v188, v46
	s_waitcnt vmcnt(18)
	v_pk_mul_f16 v47, v47, v210 op_sel_hi:[1,0]
	v_pk_mul_f16 v46, v210, v46 op_sel_hi:[0,1]
	v_pk_fma_f16 v188, v47, v38, v200 op_sel_hi:[1,0,1]
	v_pk_fma_f16 v42, v47, v34, v42 op_sel_hi:[1,0,1]
	;; [unrolled: 1-line block ×4, first 2 shown]
	v_lshrrev_b32_e32 v46, 16, v207
	v_cvt_f16_i16_sdwa v47, sext(v207) dst_sel:DWORD dst_unused:UNUSED_PAD src0_sel:BYTE_0
	v_pack_b32_f16 v47, v47, v189
	v_cvt_f16_i16_sdwa v189, sext(v46) dst_sel:DWORD dst_unused:UNUSED_PAD src0_sel:BYTE_0
	v_cvt_f16_i16_sdwa v46, sext(v46) dst_sel:DWORD dst_unused:UNUSED_PAD src0_sel:BYTE_1
	s_waitcnt vmcnt(17)
	v_pk_mul_f16 v37, v37, v211 op_sel_hi:[1,0]
	v_pk_mul_f16 v33, v211, v33 op_sel_hi:[0,1]
	v_pack_b32_f16 v46, v189, v46
	v_pk_fma_f16 v43, v37, v38, v194 op_sel_hi:[1,0,1]
	v_pk_fma_f16 v37, v37, v34, v195 op_sel_hi:[1,0,1]
	;; [unrolled: 1-line block ×4, first 2 shown]
	v_pk_mul_f16 v47, v47, v208 op_sel_hi:[1,0]
	v_pk_mul_f16 v46, v208, v46 op_sel_hi:[0,1]
	buffer_store_dword v43, off, s[0:3], 0
	buffer_store_dword v37, off, s[0:3], 0 offset:16
	buffer_store_dword v45, off, s[0:3], 0 offset:4
	;; [unrolled: 1-line block ×3, first 2 shown]
	v_pk_fma_f16 v43, v47, v38, v43 op_sel:[0,1,0]
	v_pk_fma_f16 v37, v47, v34, v37 op_sel:[0,1,0]
	;; [unrolled: 1-line block ×4, first 2 shown]
	v_lshrrev_b32_e32 v46, 16, v205
	v_cvt_f16_i16_sdwa v47, sext(v205) dst_sel:DWORD dst_unused:UNUSED_PAD src0_sel:BYTE_0
	v_cvt_f16_i16_sdwa v189, sext(v205) dst_sel:DWORD dst_unused:UNUSED_PAD src0_sel:BYTE_1
	v_pack_b32_f16 v47, v47, v189
	v_cvt_f16_i16_sdwa v189, sext(v46) dst_sel:DWORD dst_unused:UNUSED_PAD src0_sel:BYTE_0
	v_cvt_f16_i16_sdwa v46, sext(v46) dst_sel:DWORD dst_unused:UNUSED_PAD src0_sel:BYTE_1
	v_pack_b32_f16 v46, v189, v46
	v_pk_mul_f16 v47, v47, v206 op_sel_hi:[1,0]
	v_pk_mul_f16 v46, v206, v46 op_sel_hi:[0,1]
	buffer_store_dword v188, off, s[0:3], 0 offset:8
	buffer_store_dword v42, off, s[0:3], 0 offset:24
	;; [unrolled: 1-line block ×4, first 2 shown]
	v_pk_fma_f16 v188, v47, v38, v188 op_sel:[0,1,0]
	v_pk_fma_f16 v42, v47, v34, v42 op_sel:[0,1,0]
	;; [unrolled: 1-line block ×4, first 2 shown]
	s_waitcnt vmcnt(24)
	v_lshrrev_b32_e32 v34, 16, v201
	v_cvt_f16_i16_sdwa v38, sext(v201) dst_sel:DWORD dst_unused:UNUSED_PAD src0_sel:BYTE_0
	v_cvt_f16_i16_sdwa v46, sext(v201) dst_sel:DWORD dst_unused:UNUSED_PAD src0_sel:BYTE_1
	v_pack_b32_f16 v38, v38, v46
	v_cvt_f16_i16_sdwa v46, sext(v34) dst_sel:DWORD dst_unused:UNUSED_PAD src0_sel:BYTE_0
	v_cvt_f16_i16_sdwa v34, sext(v34) dst_sel:DWORD dst_unused:UNUSED_PAD src0_sel:BYTE_1
	v_pack_b32_f16 v34, v46, v34
	buffer_store_dword v37, off, s[0:3], 0 offset:16
	buffer_store_dword v33, off, s[0:3], 0 offset:20
	;; [unrolled: 1-line block ×4, first 2 shown]
	s_waitcnt vmcnt(16)
	v_pk_mul_f16 v38, v38, v41 op_sel_hi:[1,0]
	v_pk_mul_f16 v34, v41, v34 op_sel_hi:[0,1]
	v_pk_fma_f16 v194, v38, v39, v43 op_sel_hi:[1,0,1]
	v_pk_fma_f16 v38, v38, v35, v37 op_sel_hi:[1,0,1]
	;; [unrolled: 1-line block ×4, first 2 shown]
	v_lshrrev_b32_e32 v33, 16, v44
	v_cvt_f16_i16_sdwa v37, sext(v44) dst_sel:DWORD dst_unused:UNUSED_PAD src0_sel:BYTE_0
	v_cvt_f16_i16_sdwa v41, sext(v44) dst_sel:DWORD dst_unused:UNUSED_PAD src0_sel:BYTE_1
	v_pack_b32_f16 v37, v37, v41
	v_cvt_f16_i16_sdwa v41, sext(v33) dst_sel:DWORD dst_unused:UNUSED_PAD src0_sel:BYTE_0
	v_cvt_f16_i16_sdwa v33, sext(v33) dst_sel:DWORD dst_unused:UNUSED_PAD src0_sel:BYTE_1
	v_pack_b32_f16 v33, v41, v33
	v_pk_mul_f16 v33, v40, v33 op_sel_hi:[0,1]
	v_pk_fma_f16 v199, v33, v35, v32 op_sel_hi:[1,0,1]
	v_add_co_u32_e32 v32, vcc, s8, v138
	v_pk_mul_f16 v37, v37, v40 op_sel_hi:[1,0]
	v_pk_fma_f16 v198, v33, v39, v36 op_sel_hi:[1,0,1]
	v_addc_co_u32_e32 v33, vcc, v187, v91, vcc
	v_pk_fma_f16 v196, v37, v39, v188 op_sel_hi:[1,0,1]
	v_pk_fma_f16 v197, v37, v35, v42 op_sel_hi:[1,0,1]
	v_mad_u64_u32 v[36:37], s[16:17], v104, 34, v[32:33]
	v_add_co_u32_e32 v40, vcc, v36, v106
	v_addc_co_u32_e32 v41, vcc, 0, v37, vcc
	v_mad_u64_u32 v[32:33], s[16:17], v88, 34, v[32:33]
	global_load_dword v200, v[40:41], off offset:2
	v_add_co_u32_e32 v40, vcc, v32, v90
	v_addc_co_u32_e32 v41, vcc, 0, v33, vcc
	buffer_store_dword v42, off, s[0:3], 0 offset:24
	v_add_co_u32_e32 v42, vcc, s8, v140
	buffer_store_dword v43, off, s[0:3], 0
	v_addc_co_u32_e32 v43, vcc, v187, v97, vcc
	buffer_store_dword v45, off, s[0:3], 0 offset:4
	v_mad_u64_u32 v[44:45], s[16:17], v104, 34, v[42:43]
	v_add_co_u32_e32 v46, vcc, v44, v106
	v_addc_co_u32_e32 v47, vcc, 0, v45, vcc
	v_mad_u64_u32 v[42:43], s[16:17], v88, 34, v[42:43]
	buffer_store_dword v188, off, s[0:3], 0 offset:8
	v_add_co_u32_e32 v188, vcc, v42, v90
	buffer_store_dword v194, off, s[0:3], 0
	buffer_store_dword v38, off, s[0:3], 0 offset:16
	buffer_store_dword v195, off, s[0:3], 0 offset:4
	;; [unrolled: 1-line block ×7, first 2 shown]
	v_addc_co_u32_e32 v189, vcc, 0, v43, vcc
	global_load_dword v188, v[188:189], off offset:2
	s_nop 0
	global_load_ushort v189, v[42:43], off
	global_load_dword v201, v[46:47], off offset:2
	global_load_ushort v202, v[44:45], off
	global_load_dword v203, v[40:41], off offset:2
	global_load_ushort v204, v[32:33], off
	global_load_ushort v205, v[36:37], off
	v_lshrrev_b32_e32 v32, 16, v190
	v_cvt_f16_i16_sdwa v33, sext(v190) dst_sel:DWORD dst_unused:UNUSED_PAD src0_sel:BYTE_0
	v_cvt_f16_i16_sdwa v36, sext(v190) dst_sel:DWORD dst_unused:UNUSED_PAD src0_sel:BYTE_1
	v_pack_b32_f16 v33, v33, v36
	v_cvt_f16_i16_sdwa v36, sext(v32) dst_sel:DWORD dst_unused:UNUSED_PAD src0_sel:BYTE_0
	v_cvt_f16_i16_sdwa v32, sext(v32) dst_sel:DWORD dst_unused:UNUSED_PAD src0_sel:BYTE_1
	v_pack_b32_f16 v32, v36, v32
	v_pk_mul_f16 v33, v33, v191 op_sel_hi:[1,0]
	v_pk_mul_f16 v32, v191, v32 op_sel_hi:[0,1]
	v_pk_fma_f16 v190, v33, v39, v194 op_sel:[0,1,0]
	v_pk_fma_f16 v191, v33, v35, v38 op_sel:[0,1,0]
	;; [unrolled: 1-line block ×4, first 2 shown]
	v_lshrrev_b32_e32 v32, 16, v192
	v_cvt_f16_i16_sdwa v33, sext(v192) dst_sel:DWORD dst_unused:UNUSED_PAD src0_sel:BYTE_0
	v_cvt_f16_i16_sdwa v34, sext(v192) dst_sel:DWORD dst_unused:UNUSED_PAD src0_sel:BYTE_1
	v_pack_b32_f16 v33, v33, v34
	v_cvt_f16_i16_sdwa v34, sext(v32) dst_sel:DWORD dst_unused:UNUSED_PAD src0_sel:BYTE_0
	v_cvt_f16_i16_sdwa v32, sext(v32) dst_sel:DWORD dst_unused:UNUSED_PAD src0_sel:BYTE_1
	v_pack_b32_f16 v32, v34, v32
	v_pk_mul_f16 v33, v33, v193 op_sel_hi:[1,0]
	v_pk_mul_f16 v34, v193, v32 op_sel_hi:[0,1]
	v_add_co_u32_e32 v32, vcc, s8, v142
	v_pk_fma_f16 v192, v33, v39, v196 op_sel:[0,1,0]
	v_pk_fma_f16 v193, v33, v35, v197 op_sel:[0,1,0]
	v_addc_co_u32_e32 v33, vcc, v187, v99, vcc
	v_mad_u64_u32 v[36:37], s[16:17], v104, 34, v[32:33]
	v_add_co_u32_e32 v38, vcc, v36, v106
	v_pk_fma_f16 v196, v34, v39, v198 op_sel:[0,1,0]
	v_addc_co_u32_e32 v39, vcc, 0, v37, vcc
	v_mad_u64_u32 v[32:33], s[16:17], v88, 34, v[32:33]
	global_load_dword v197, v[38:39], off offset:2
	v_add_co_u32_e32 v38, vcc, v32, v90
	v_addc_co_u32_e32 v39, vcc, 0, v33, vcc
	v_add_co_u32_e32 v40, vcc, s8, v144
	v_addc_co_u32_e32 v41, vcc, v187, v101, vcc
	v_mad_u64_u32 v[42:43], s[16:17], v104, 34, v[40:41]
	v_add_co_u32_e32 v44, vcc, v42, v106
	v_addc_co_u32_e32 v45, vcc, 0, v43, vcc
	v_mad_u64_u32 v[40:41], s[16:17], v88, 34, v[40:41]
	v_add_co_u32_e32 v46, vcc, v40, v90
	buffer_store_dword v190, off, s[0:3], 0
	buffer_store_dword v191, off, s[0:3], 0 offset:16
	buffer_store_dword v194, off, s[0:3], 0 offset:4
	;; [unrolled: 1-line block ×5, first 2 shown]
	v_addc_co_u32_e32 v47, vcc, 0, v41, vcc
	global_load_dword v206, v[46:47], off offset:2
	global_load_ushort v207, v[40:41], off
	global_load_dword v208, v[44:45], off offset:2
	global_load_ushort v209, v[42:43], off
	;; [unrolled: 2-line block ×3, first 2 shown]
	global_load_ushort v211, v[36:37], off
	v_pk_fma_f16 v199, v34, v35, v199 op_sel:[0,1,0]
	ds_read_b128 v[40:43], v182 offset:288
	ds_read_b128 v[36:39], v182 offset:304
	s_waitcnt vmcnt(33)
	v_cvt_f16_i16_sdwa v33, sext(v200) dst_sel:DWORD dst_unused:UNUSED_PAD src0_sel:BYTE_0
	v_cvt_f16_i16_sdwa v34, sext(v200) dst_sel:DWORD dst_unused:UNUSED_PAD src0_sel:BYTE_1
	ds_read_b128 v[44:47], v182 offset:32
	v_lshrrev_b32_e32 v32, 16, v200
	v_pack_b32_f16 v33, v33, v34
	buffer_store_dword v196, off, s[0:3], 0 offset:12
	buffer_store_dword v199, off, s[0:3], 0 offset:28
	s_waitcnt vmcnt(16)
	v_pk_mul_f16 v200, v33, v205 op_sel_hi:[1,0]
	v_cvt_f16_i16_sdwa v33, sext(v32) dst_sel:DWORD dst_unused:UNUSED_PAD src0_sel:BYTE_0
	v_cvt_f16_i16_sdwa v32, sext(v32) dst_sel:DWORD dst_unused:UNUSED_PAD src0_sel:BYTE_1
	v_pack_b32_f16 v32, v33, v32
	v_pk_mul_f16 v205, v205, v32 op_sel_hi:[0,1]
	ds_read_b128 v[32:35], v182 offset:48
	s_waitcnt lgkmcnt(1)
	v_pk_fma_f16 v190, v200, v44, v190 op_sel_hi:[1,0,1]
	v_pk_fma_f16 v191, v200, v40, v191 op_sel_hi:[1,0,1]
	;; [unrolled: 1-line block ×4, first 2 shown]
	v_lshrrev_b32_e32 v200, 16, v203
	v_cvt_f16_i16_sdwa v205, sext(v203) dst_sel:DWORD dst_unused:UNUSED_PAD src0_sel:BYTE_0
	v_cvt_f16_i16_sdwa v203, sext(v203) dst_sel:DWORD dst_unused:UNUSED_PAD src0_sel:BYTE_1
	v_pack_b32_f16 v203, v205, v203
	v_cvt_f16_i16_sdwa v205, sext(v200) dst_sel:DWORD dst_unused:UNUSED_PAD src0_sel:BYTE_0
	v_cvt_f16_i16_sdwa v200, sext(v200) dst_sel:DWORD dst_unused:UNUSED_PAD src0_sel:BYTE_1
	v_pack_b32_f16 v200, v205, v200
	v_pk_mul_f16 v203, v203, v204 op_sel_hi:[1,0]
	v_pk_mul_f16 v200, v204, v200 op_sel_hi:[0,1]
	v_pk_fma_f16 v192, v203, v44, v192 op_sel_hi:[1,0,1]
	v_pk_fma_f16 v193, v203, v40, v193 op_sel_hi:[1,0,1]
	;; [unrolled: 1-line block ×4, first 2 shown]
	v_lshrrev_b32_e32 v200, 16, v201
	v_cvt_f16_i16_sdwa v203, sext(v201) dst_sel:DWORD dst_unused:UNUSED_PAD src0_sel:BYTE_0
	v_cvt_f16_i16_sdwa v201, sext(v201) dst_sel:DWORD dst_unused:UNUSED_PAD src0_sel:BYTE_1
	v_pack_b32_f16 v201, v203, v201
	v_cvt_f16_i16_sdwa v203, sext(v200) dst_sel:DWORD dst_unused:UNUSED_PAD src0_sel:BYTE_0
	v_cvt_f16_i16_sdwa v200, sext(v200) dst_sel:DWORD dst_unused:UNUSED_PAD src0_sel:BYTE_1
	v_pack_b32_f16 v200, v203, v200
	v_pk_mul_f16 v201, v201, v202 op_sel_hi:[1,0]
	v_pk_mul_f16 v200, v202, v200 op_sel_hi:[0,1]
	buffer_store_dword v190, off, s[0:3], 0
	buffer_store_dword v191, off, s[0:3], 0 offset:16
	buffer_store_dword v194, off, s[0:3], 0 offset:4
	;; [unrolled: 1-line block ×3, first 2 shown]
	v_pk_fma_f16 v190, v201, v44, v190 op_sel:[0,1,0]
	v_pk_fma_f16 v191, v201, v40, v191 op_sel:[0,1,0]
	v_pk_fma_f16 v194, v200, v44, v194 op_sel:[0,1,0]
	v_pk_fma_f16 v195, v200, v40, v195 op_sel:[0,1,0]
	v_lshrrev_b32_e32 v200, 16, v188
	v_cvt_f16_i16_sdwa v201, sext(v188) dst_sel:DWORD dst_unused:UNUSED_PAD src0_sel:BYTE_0
	v_cvt_f16_i16_sdwa v188, sext(v188) dst_sel:DWORD dst_unused:UNUSED_PAD src0_sel:BYTE_1
	v_pack_b32_f16 v188, v201, v188
	v_cvt_f16_i16_sdwa v201, sext(v200) dst_sel:DWORD dst_unused:UNUSED_PAD src0_sel:BYTE_0
	v_cvt_f16_i16_sdwa v200, sext(v200) dst_sel:DWORD dst_unused:UNUSED_PAD src0_sel:BYTE_1
	v_pack_b32_f16 v200, v201, v200
	v_pk_mul_f16 v188, v188, v189 op_sel_hi:[1,0]
	v_pk_mul_f16 v189, v189, v200 op_sel_hi:[0,1]
	buffer_store_dword v192, off, s[0:3], 0 offset:8
	buffer_store_dword v193, off, s[0:3], 0 offset:24
	;; [unrolled: 1-line block ×3, first 2 shown]
	v_pk_fma_f16 v192, v188, v44, v192 op_sel:[0,1,0]
	v_pk_fma_f16 v188, v188, v40, v193 op_sel:[0,1,0]
	;; [unrolled: 1-line block ×4, first 2 shown]
	s_waitcnt vmcnt(22)
	v_lshrrev_b32_e32 v189, 16, v197
	v_cvt_f16_i16_sdwa v193, sext(v197) dst_sel:DWORD dst_unused:UNUSED_PAD src0_sel:BYTE_0
	v_cvt_f16_i16_sdwa v196, sext(v197) dst_sel:DWORD dst_unused:UNUSED_PAD src0_sel:BYTE_1
	v_pack_b32_f16 v193, v193, v196
	v_cvt_f16_i16_sdwa v196, sext(v189) dst_sel:DWORD dst_unused:UNUSED_PAD src0_sel:BYTE_0
	v_cvt_f16_i16_sdwa v189, sext(v189) dst_sel:DWORD dst_unused:UNUSED_PAD src0_sel:BYTE_1
	v_pack_b32_f16 v189, v196, v189
	buffer_store_dword v190, off, s[0:3], 0
	buffer_store_dword v191, off, s[0:3], 0 offset:16
	s_waitcnt vmcnt(11)
	v_pk_mul_f16 v193, v193, v211 op_sel_hi:[1,0]
	v_pk_mul_f16 v189, v211, v189 op_sel_hi:[0,1]
	v_pk_fma_f16 v202, v193, v45, v190 op_sel_hi:[1,0,1]
	v_pk_fma_f16 v203, v193, v41, v191 op_sel_hi:[1,0,1]
	;; [unrolled: 1-line block ×4, first 2 shown]
	v_lshrrev_b32_e32 v189, 16, v198
	v_cvt_f16_i16_sdwa v190, sext(v198) dst_sel:DWORD dst_unused:UNUSED_PAD src0_sel:BYTE_0
	v_cvt_f16_i16_sdwa v191, sext(v198) dst_sel:DWORD dst_unused:UNUSED_PAD src0_sel:BYTE_1
	v_pack_b32_f16 v190, v190, v191
	v_cvt_f16_i16_sdwa v191, sext(v189) dst_sel:DWORD dst_unused:UNUSED_PAD src0_sel:BYTE_0
	v_cvt_f16_i16_sdwa v189, sext(v189) dst_sel:DWORD dst_unused:UNUSED_PAD src0_sel:BYTE_1
	v_pk_mul_f16 v190, v190, v210 op_sel_hi:[1,0]
	v_pack_b32_f16 v189, v191, v189
	buffer_store_dword v188, off, s[0:3], 0 offset:24
	v_pk_mul_f16 v189, v210, v189 op_sel_hi:[0,1]
	v_pk_fma_f16 v211, v190, v41, v188 op_sel_hi:[1,0,1]
	v_add_co_u32_e32 v188, vcc, s8, v146
	buffer_store_dword v199, off, s[0:3], 0 offset:28
	buffer_store_dword v44, off, s[0:3], 0 offset:12
	;; [unrolled: 1-line block ×3, first 2 shown]
	v_pk_fma_f16 v44, v189, v45, v44 op_sel_hi:[1,0,1]
	v_pk_fma_f16 v40, v189, v41, v40 op_sel_hi:[1,0,1]
	v_addc_co_u32_e32 v189, vcc, v187, v103, vcc
	v_pk_fma_f16 v210, v190, v45, v192 op_sel_hi:[1,0,1]
	v_mad_u64_u32 v[190:191], s[16:17], v104, 34, v[188:189]
	buffer_store_dword v192, off, s[0:3], 0 offset:8
	v_add_co_u32_e32 v192, vcc, v190, v106
	v_addc_co_u32_e32 v193, vcc, 0, v191, vcc
	v_mad_u64_u32 v[188:189], s[16:17], v88, 34, v[188:189]
	global_load_dword v212, v[192:193], off offset:2
	v_add_co_u32_e32 v192, vcc, v188, v90
	v_addc_co_u32_e32 v193, vcc, 0, v189, vcc
	buffer_store_dword v194, off, s[0:3], 0 offset:4
	v_add_co_u32_e32 v194, vcc, s8, v148
	buffer_store_dword v195, off, s[0:3], 0 offset:20
	v_addc_co_u32_e32 v195, vcc, v187, v105, vcc
	v_mad_u64_u32 v[196:197], s[16:17], v104, 34, v[194:195]
	v_add_co_u32_e32 v198, vcc, v196, v106
	v_addc_co_u32_e32 v199, vcc, 0, v197, vcc
	v_mad_u64_u32 v[194:195], s[16:17], v88, 34, v[194:195]
	v_add_co_u32_e32 v200, vcc, v194, v90
	buffer_store_dword v202, off, s[0:3], 0
	buffer_store_dword v203, off, s[0:3], 0 offset:16
	buffer_store_dword v204, off, s[0:3], 0 offset:4
	;; [unrolled: 1-line block ×6, first 2 shown]
	v_addc_co_u32_e32 v201, vcc, 0, v195, vcc
	global_load_dword v213, v[200:201], off offset:2
	global_load_ushort v214, v[194:195], off
	global_load_dword v215, v[198:199], off offset:2
	global_load_ushort v216, v[196:197], off
	;; [unrolled: 2-line block ×3, first 2 shown]
	global_load_ushort v219, v[190:191], off
	v_lshrrev_b32_e32 v188, 16, v208
	v_cvt_f16_i16_sdwa v189, sext(v208) dst_sel:DWORD dst_unused:UNUSED_PAD src0_sel:BYTE_0
	v_cvt_f16_i16_sdwa v190, sext(v208) dst_sel:DWORD dst_unused:UNUSED_PAD src0_sel:BYTE_1
	v_pack_b32_f16 v189, v189, v190
	v_cvt_f16_i16_sdwa v190, sext(v188) dst_sel:DWORD dst_unused:UNUSED_PAD src0_sel:BYTE_0
	v_cvt_f16_i16_sdwa v188, sext(v188) dst_sel:DWORD dst_unused:UNUSED_PAD src0_sel:BYTE_1
	v_pk_mul_f16 v189, v189, v209 op_sel_hi:[1,0]
	v_pack_b32_f16 v188, v190, v188
	v_pk_mul_f16 v188, v209, v188 op_sel_hi:[0,1]
	v_pk_fma_f16 v202, v189, v45, v202 op_sel:[0,1,0]
	v_pk_fma_f16 v203, v189, v41, v203 op_sel:[0,1,0]
	v_cvt_f16_i16_sdwa v189, sext(v206) dst_sel:DWORD dst_unused:UNUSED_PAD src0_sel:BYTE_0
	v_cvt_f16_i16_sdwa v190, sext(v206) dst_sel:DWORD dst_unused:UNUSED_PAD src0_sel:BYTE_1
	v_pk_fma_f16 v204, v188, v45, v204 op_sel:[0,1,0]
	v_pk_fma_f16 v205, v188, v41, v205 op_sel:[0,1,0]
	v_lshrrev_b32_e32 v188, 16, v206
	v_pack_b32_f16 v189, v189, v190
	v_pk_mul_f16 v206, v189, v207 op_sel_hi:[1,0]
	v_cvt_f16_i16_sdwa v189, sext(v188) dst_sel:DWORD dst_unused:UNUSED_PAD src0_sel:BYTE_0
	v_cvt_f16_i16_sdwa v188, sext(v188) dst_sel:DWORD dst_unused:UNUSED_PAD src0_sel:BYTE_1
	v_pack_b32_f16 v188, v189, v188
	v_pk_mul_f16 v207, v207, v188 op_sel_hi:[0,1]
	v_add_co_u32_e32 v188, vcc, s8, v150
	v_addc_co_u32_e32 v189, vcc, v187, v107, vcc
	v_mad_u64_u32 v[190:191], s[16:17], v104, 34, v[188:189]
	v_add_co_u32_e32 v192, vcc, v190, v106
	v_addc_co_u32_e32 v193, vcc, 0, v191, vcc
	v_mad_u64_u32 v[188:189], s[16:17], v88, 34, v[188:189]
	global_load_dword v209, v[192:193], off offset:2
	v_add_co_u32_e32 v192, vcc, v188, v90
	v_addc_co_u32_e32 v193, vcc, 0, v189, vcc
	v_add_co_u32_e32 v194, vcc, s8, v152
	v_addc_co_u32_e32 v195, vcc, v187, v109, vcc
	v_mad_u64_u32 v[196:197], s[16:17], v104, 34, v[194:195]
	v_add_co_u32_e32 v198, vcc, v196, v106
	v_addc_co_u32_e32 v199, vcc, 0, v197, vcc
	v_mad_u64_u32 v[194:195], s[16:17], v88, 34, v[194:195]
	v_add_co_u32_e32 v200, vcc, v194, v90
	buffer_store_dword v40, off, s[0:3], 0 offset:28
	buffer_store_dword v202, off, s[0:3], 0
	buffer_store_dword v203, off, s[0:3], 0 offset:16
	buffer_store_dword v204, off, s[0:3], 0 offset:4
	;; [unrolled: 1-line block ×3, first 2 shown]
	v_addc_co_u32_e32 v201, vcc, 0, v195, vcc
	global_load_dword v200, v[200:201], off offset:2
	s_nop 0
	global_load_ushort v201, v[194:195], off
	s_nop 0
	global_load_dword v198, v[198:199], off offset:2
	s_nop 0
	global_load_ushort v199, v[196:197], off
	s_nop 0
	;; [unrolled: 4-line block ×3, first 2 shown]
	global_load_ushort v189, v[190:191], off
	v_pk_fma_f16 v208, v206, v45, v210 op_sel:[0,1,0]
	v_pk_fma_f16 v190, v206, v41, v211 op_sel:[0,1,0]
	;; [unrolled: 1-line block ×4, first 2 shown]
	s_waitcnt vmcnt(29)
	v_lshrrev_b32_e32 v41, 16, v212
	v_cvt_f16_i16_sdwa v45, sext(v212) dst_sel:DWORD dst_unused:UNUSED_PAD src0_sel:BYTE_0
	v_cvt_f16_i16_sdwa v191, sext(v212) dst_sel:DWORD dst_unused:UNUSED_PAD src0_sel:BYTE_1
	buffer_store_dword v190, off, s[0:3], 0 offset:24
	buffer_store_dword v44, off, s[0:3], 0 offset:12
	;; [unrolled: 1-line block ×3, first 2 shown]
	v_pack_b32_f16 v45, v45, v191
	v_cvt_f16_i16_sdwa v191, sext(v41) dst_sel:DWORD dst_unused:UNUSED_PAD src0_sel:BYTE_0
	v_cvt_f16_i16_sdwa v41, sext(v41) dst_sel:DWORD dst_unused:UNUSED_PAD src0_sel:BYTE_1
	v_pack_b32_f16 v41, v191, v41
	s_waitcnt vmcnt(20)
	v_cvt_f16_i16_sdwa v197, sext(v215) dst_sel:DWORD dst_unused:UNUSED_PAD src0_sel:BYTE_1
	buffer_store_dword v208, off, s[0:3], 0 offset:8
	s_waitcnt vmcnt(19)
	v_lshrrev_b32_e32 v194, 16, v217
	v_cvt_f16_i16_sdwa v195, sext(v217) dst_sel:DWORD dst_unused:UNUSED_PAD src0_sel:BYTE_0
	v_cvt_f16_i16_sdwa v196, sext(v217) dst_sel:DWORD dst_unused:UNUSED_PAD src0_sel:BYTE_1
	v_pack_b32_f16 v195, v195, v196
	v_cvt_f16_i16_sdwa v196, sext(v194) dst_sel:DWORD dst_unused:UNUSED_PAD src0_sel:BYTE_0
	v_cvt_f16_i16_sdwa v194, sext(v194) dst_sel:DWORD dst_unused:UNUSED_PAD src0_sel:BYTE_1
	v_pack_b32_f16 v194, v196, v194
	s_waitcnt vmcnt(18)
	v_pk_mul_f16 v195, v195, v218 op_sel_hi:[1,0]
	v_pk_mul_f16 v194, v218, v194 op_sel_hi:[0,1]
	v_pk_fma_f16 v196, v195, v46, v208 op_sel_hi:[1,0,1]
	v_pk_fma_f16 v190, v195, v42, v190 op_sel_hi:[1,0,1]
	;; [unrolled: 1-line block ×4, first 2 shown]
	v_lshrrev_b32_e32 v194, 16, v215
	v_cvt_f16_i16_sdwa v195, sext(v215) dst_sel:DWORD dst_unused:UNUSED_PAD src0_sel:BYTE_0
	v_pack_b32_f16 v195, v195, v197
	v_cvt_f16_i16_sdwa v197, sext(v194) dst_sel:DWORD dst_unused:UNUSED_PAD src0_sel:BYTE_0
	v_cvt_f16_i16_sdwa v194, sext(v194) dst_sel:DWORD dst_unused:UNUSED_PAD src0_sel:BYTE_1
	s_waitcnt vmcnt(17)
	v_pk_mul_f16 v45, v45, v219 op_sel_hi:[1,0]
	v_pk_mul_f16 v41, v219, v41 op_sel_hi:[0,1]
	v_pack_b32_f16 v194, v197, v194
	v_pk_fma_f16 v191, v45, v46, v202 op_sel_hi:[1,0,1]
	v_pk_fma_f16 v45, v45, v42, v203 op_sel_hi:[1,0,1]
	;; [unrolled: 1-line block ×4, first 2 shown]
	v_pk_mul_f16 v195, v195, v216 op_sel_hi:[1,0]
	v_pk_mul_f16 v194, v216, v194 op_sel_hi:[0,1]
	buffer_store_dword v191, off, s[0:3], 0
	buffer_store_dword v45, off, s[0:3], 0 offset:16
	buffer_store_dword v193, off, s[0:3], 0 offset:4
	;; [unrolled: 1-line block ×3, first 2 shown]
	v_pk_fma_f16 v191, v195, v46, v191 op_sel:[0,1,0]
	v_pk_fma_f16 v45, v195, v42, v45 op_sel:[0,1,0]
	;; [unrolled: 1-line block ×4, first 2 shown]
	v_lshrrev_b32_e32 v194, 16, v213
	v_cvt_f16_i16_sdwa v195, sext(v213) dst_sel:DWORD dst_unused:UNUSED_PAD src0_sel:BYTE_0
	v_cvt_f16_i16_sdwa v197, sext(v213) dst_sel:DWORD dst_unused:UNUSED_PAD src0_sel:BYTE_1
	v_pack_b32_f16 v195, v195, v197
	v_cvt_f16_i16_sdwa v197, sext(v194) dst_sel:DWORD dst_unused:UNUSED_PAD src0_sel:BYTE_0
	v_cvt_f16_i16_sdwa v194, sext(v194) dst_sel:DWORD dst_unused:UNUSED_PAD src0_sel:BYTE_1
	v_pack_b32_f16 v194, v197, v194
	v_pk_mul_f16 v195, v195, v214 op_sel_hi:[1,0]
	v_pk_mul_f16 v194, v214, v194 op_sel_hi:[0,1]
	buffer_store_dword v196, off, s[0:3], 0 offset:8
	buffer_store_dword v190, off, s[0:3], 0 offset:24
	;; [unrolled: 1-line block ×4, first 2 shown]
	v_pk_fma_f16 v196, v195, v46, v196 op_sel:[0,1,0]
	v_pk_fma_f16 v190, v195, v42, v190 op_sel:[0,1,0]
	;; [unrolled: 1-line block ×4, first 2 shown]
	s_waitcnt vmcnt(24)
	v_lshrrev_b32_e32 v42, 16, v209
	v_cvt_f16_i16_sdwa v46, sext(v209) dst_sel:DWORD dst_unused:UNUSED_PAD src0_sel:BYTE_0
	v_cvt_f16_i16_sdwa v194, sext(v209) dst_sel:DWORD dst_unused:UNUSED_PAD src0_sel:BYTE_1
	v_pack_b32_f16 v46, v46, v194
	v_cvt_f16_i16_sdwa v194, sext(v42) dst_sel:DWORD dst_unused:UNUSED_PAD src0_sel:BYTE_0
	v_cvt_f16_i16_sdwa v42, sext(v42) dst_sel:DWORD dst_unused:UNUSED_PAD src0_sel:BYTE_1
	v_pack_b32_f16 v42, v194, v42
	buffer_store_dword v45, off, s[0:3], 0 offset:16
	buffer_store_dword v41, off, s[0:3], 0 offset:20
	;; [unrolled: 1-line block ×4, first 2 shown]
	s_waitcnt vmcnt(16)
	v_pk_mul_f16 v46, v46, v189 op_sel_hi:[1,0]
	v_pk_mul_f16 v42, v189, v42 op_sel_hi:[0,1]
	v_pk_fma_f16 v202, v46, v47, v191 op_sel_hi:[1,0,1]
	v_pk_fma_f16 v46, v46, v43, v45 op_sel_hi:[1,0,1]
	;; [unrolled: 1-line block ×4, first 2 shown]
	v_lshrrev_b32_e32 v41, 16, v192
	v_cvt_f16_i16_sdwa v45, sext(v192) dst_sel:DWORD dst_unused:UNUSED_PAD src0_sel:BYTE_0
	v_cvt_f16_i16_sdwa v189, sext(v192) dst_sel:DWORD dst_unused:UNUSED_PAD src0_sel:BYTE_1
	v_pack_b32_f16 v45, v45, v189
	v_cvt_f16_i16_sdwa v189, sext(v41) dst_sel:DWORD dst_unused:UNUSED_PAD src0_sel:BYTE_0
	v_cvt_f16_i16_sdwa v41, sext(v41) dst_sel:DWORD dst_unused:UNUSED_PAD src0_sel:BYTE_1
	v_pack_b32_f16 v41, v189, v41
	v_pk_mul_f16 v41, v188, v41 op_sel_hi:[0,1]
	v_pk_fma_f16 v207, v41, v43, v40 op_sel_hi:[1,0,1]
	v_add_co_u32_e32 v40, vcc, s8, v154
	v_pk_mul_f16 v45, v45, v188 op_sel_hi:[1,0]
	v_pk_fma_f16 v206, v41, v47, v44 op_sel_hi:[1,0,1]
	v_addc_co_u32_e32 v41, vcc, v187, v111, vcc
	v_pk_fma_f16 v204, v45, v47, v196 op_sel_hi:[1,0,1]
	v_pk_fma_f16 v205, v45, v43, v190 op_sel_hi:[1,0,1]
	v_mad_u64_u32 v[44:45], s[16:17], v104, 34, v[40:41]
	v_add_co_u32_e32 v188, vcc, v44, v106
	v_addc_co_u32_e32 v189, vcc, 0, v45, vcc
	v_mad_u64_u32 v[40:41], s[16:17], v88, 34, v[40:41]
	global_load_dword v208, v[188:189], off offset:2
	v_add_co_u32_e32 v188, vcc, v40, v90
	v_addc_co_u32_e32 v189, vcc, 0, v41, vcc
	buffer_store_dword v190, off, s[0:3], 0 offset:24
	v_add_co_u32_e32 v190, vcc, s8, v156
	buffer_store_dword v191, off, s[0:3], 0
	v_addc_co_u32_e32 v191, vcc, v187, v113, vcc
	buffer_store_dword v193, off, s[0:3], 0 offset:4
	v_mad_u64_u32 v[192:193], s[16:17], v104, 34, v[190:191]
	v_add_co_u32_e32 v194, vcc, v192, v106
	v_addc_co_u32_e32 v195, vcc, 0, v193, vcc
	v_mad_u64_u32 v[190:191], s[16:17], v88, 34, v[190:191]
	buffer_store_dword v196, off, s[0:3], 0 offset:8
	v_add_co_u32_e32 v196, vcc, v190, v90
	buffer_store_dword v202, off, s[0:3], 0
	buffer_store_dword v46, off, s[0:3], 0 offset:16
	buffer_store_dword v203, off, s[0:3], 0 offset:4
	;; [unrolled: 1-line block ×6, first 2 shown]
	v_addc_co_u32_e32 v197, vcc, 0, v191, vcc
	global_load_dword v209, v[196:197], off offset:2
	global_load_ushort v210, v[190:191], off
	global_load_dword v211, v[194:195], off offset:2
	global_load_ushort v212, v[192:193], off
	;; [unrolled: 2-line block ×3, first 2 shown]
	global_load_ushort v215, v[44:45], off
	v_lshrrev_b32_e32 v40, 16, v198
	v_cvt_f16_i16_sdwa v41, sext(v198) dst_sel:DWORD dst_unused:UNUSED_PAD src0_sel:BYTE_0
	v_cvt_f16_i16_sdwa v44, sext(v198) dst_sel:DWORD dst_unused:UNUSED_PAD src0_sel:BYTE_1
	v_pack_b32_f16 v41, v41, v44
	v_cvt_f16_i16_sdwa v44, sext(v40) dst_sel:DWORD dst_unused:UNUSED_PAD src0_sel:BYTE_0
	v_cvt_f16_i16_sdwa v40, sext(v40) dst_sel:DWORD dst_unused:UNUSED_PAD src0_sel:BYTE_1
	v_pk_mul_f16 v41, v41, v199 op_sel_hi:[1,0]
	v_pack_b32_f16 v40, v44, v40
	v_pk_mul_f16 v40, v199, v40 op_sel_hi:[0,1]
	v_pk_fma_f16 v198, v41, v47, v202 op_sel:[0,1,0]
	v_pk_fma_f16 v46, v41, v43, v46 op_sel:[0,1,0]
	v_cvt_f16_i16_sdwa v41, sext(v200) dst_sel:DWORD dst_unused:UNUSED_PAD src0_sel:BYTE_0
	v_cvt_f16_i16_sdwa v44, sext(v200) dst_sel:DWORD dst_unused:UNUSED_PAD src0_sel:BYTE_1
	v_pk_fma_f16 v199, v40, v47, v203 op_sel:[0,1,0]
	v_pk_fma_f16 v42, v40, v43, v42 op_sel:[0,1,0]
	v_lshrrev_b32_e32 v40, 16, v200
	v_pack_b32_f16 v41, v41, v44
	v_pk_mul_f16 v200, v41, v201 op_sel_hi:[1,0]
	v_cvt_f16_i16_sdwa v41, sext(v40) dst_sel:DWORD dst_unused:UNUSED_PAD src0_sel:BYTE_0
	v_cvt_f16_i16_sdwa v40, sext(v40) dst_sel:DWORD dst_unused:UNUSED_PAD src0_sel:BYTE_1
	v_pack_b32_f16 v40, v41, v40
	v_pk_mul_f16 v201, v201, v40 op_sel_hi:[0,1]
	v_add_co_u32_e32 v40, vcc, s8, v158
	v_addc_co_u32_e32 v41, vcc, v187, v115, vcc
	v_mad_u64_u32 v[44:45], s[16:17], v104, 34, v[40:41]
	v_add_co_u32_e32 v188, vcc, v44, v106
	v_addc_co_u32_e32 v189, vcc, 0, v45, vcc
	v_mad_u64_u32 v[40:41], s[16:17], v88, 34, v[40:41]
	global_load_dword v203, v[188:189], off offset:2
	v_add_co_u32_e32 v188, vcc, v40, v90
	v_addc_co_u32_e32 v189, vcc, 0, v41, vcc
	v_add_co_u32_e32 v190, vcc, s8, v160
	v_addc_co_u32_e32 v191, vcc, v187, v117, vcc
	v_mad_u64_u32 v[192:193], s[16:17], v104, 34, v[190:191]
	v_add_co_u32_e32 v194, vcc, v192, v106
	v_addc_co_u32_e32 v195, vcc, 0, v193, vcc
	v_mad_u64_u32 v[190:191], s[16:17], v88, 34, v[190:191]
	v_add_co_u32_e32 v196, vcc, v190, v90
	buffer_store_dword v207, off, s[0:3], 0 offset:28
	buffer_store_dword v198, off, s[0:3], 0
	buffer_store_dword v46, off, s[0:3], 0 offset:16
	buffer_store_dword v199, off, s[0:3], 0 offset:4
	;; [unrolled: 1-line block ×3, first 2 shown]
	v_addc_co_u32_e32 v197, vcc, 0, v191, vcc
	global_load_dword v196, v[196:197], off offset:2
	s_nop 0
	global_load_ushort v197, v[190:191], off
	s_nop 0
	global_load_dword v194, v[194:195], off offset:2
	s_nop 0
	global_load_ushort v195, v[192:193], off
	s_nop 0
	;; [unrolled: 4-line block ×3, first 2 shown]
	global_load_ushort v41, v[44:45], off
	v_pk_fma_f16 v202, v200, v47, v204 op_sel:[0,1,0]
	v_pk_fma_f16 v45, v201, v47, v206 op_sel:[0,1,0]
	s_waitcnt vmcnt(31)
	v_lshrrev_b32_e32 v47, 16, v208
	v_cvt_f16_i16_sdwa v189, sext(v208) dst_sel:DWORD dst_unused:UNUSED_PAD src0_sel:BYTE_0
	v_cvt_f16_i16_sdwa v190, sext(v208) dst_sel:DWORD dst_unused:UNUSED_PAD src0_sel:BYTE_1
	v_pack_b32_f16 v189, v189, v190
	v_cvt_f16_i16_sdwa v190, sext(v47) dst_sel:DWORD dst_unused:UNUSED_PAD src0_sel:BYTE_0
	v_cvt_f16_i16_sdwa v47, sext(v47) dst_sel:DWORD dst_unused:UNUSED_PAD src0_sel:BYTE_1
	v_pack_b32_f16 v47, v190, v47
	v_pk_fma_f16 v44, v200, v43, v205 op_sel:[0,1,0]
	v_pk_fma_f16 v43, v201, v43, v207 op_sel:[0,1,0]
	buffer_store_dword v44, off, s[0:3], 0 offset:24
	buffer_store_dword v45, off, s[0:3], 0 offset:12
	;; [unrolled: 1-line block ×3, first 2 shown]
	s_waitcnt vmcnt(20)
	v_cvt_f16_i16_sdwa v193, sext(v211) dst_sel:DWORD dst_unused:UNUSED_PAD src0_sel:BYTE_1
	buffer_store_dword v202, off, s[0:3], 0 offset:8
	s_waitcnt vmcnt(19)
	v_cvt_f16_i16_sdwa v191, sext(v213) dst_sel:DWORD dst_unused:UNUSED_PAD src0_sel:BYTE_0
	v_cvt_f16_i16_sdwa v192, sext(v213) dst_sel:DWORD dst_unused:UNUSED_PAD src0_sel:BYTE_1
	s_waitcnt vmcnt(17)
	v_pk_mul_f16 v189, v189, v215 op_sel_hi:[1,0]
	v_pk_mul_f16 v47, v215, v47 op_sel_hi:[0,1]
	s_waitcnt lgkmcnt(0)
	v_pk_fma_f16 v190, v189, v32, v198 op_sel_hi:[1,0,1]
	v_pk_fma_f16 v46, v189, v36, v46 op_sel_hi:[1,0,1]
	;; [unrolled: 1-line block ×4, first 2 shown]
	v_lshrrev_b32_e32 v47, 16, v213
	v_pack_b32_f16 v191, v191, v192
	v_cvt_f16_i16_sdwa v192, sext(v47) dst_sel:DWORD dst_unused:UNUSED_PAD src0_sel:BYTE_0
	v_cvt_f16_i16_sdwa v47, sext(v47) dst_sel:DWORD dst_unused:UNUSED_PAD src0_sel:BYTE_1
	v_pack_b32_f16 v47, v192, v47
	v_pk_mul_f16 v191, v191, v214 op_sel_hi:[1,0]
	v_pk_mul_f16 v47, v214, v47 op_sel_hi:[0,1]
	v_pk_fma_f16 v192, v191, v32, v202 op_sel_hi:[1,0,1]
	v_pk_fma_f16 v44, v191, v36, v44 op_sel_hi:[1,0,1]
	;; [unrolled: 1-line block ×4, first 2 shown]
	v_lshrrev_b32_e32 v47, 16, v211
	v_cvt_f16_i16_sdwa v191, sext(v211) dst_sel:DWORD dst_unused:UNUSED_PAD src0_sel:BYTE_0
	v_pack_b32_f16 v191, v191, v193
	v_cvt_f16_i16_sdwa v193, sext(v47) dst_sel:DWORD dst_unused:UNUSED_PAD src0_sel:BYTE_0
	v_cvt_f16_i16_sdwa v47, sext(v47) dst_sel:DWORD dst_unused:UNUSED_PAD src0_sel:BYTE_1
	v_pack_b32_f16 v47, v193, v47
	v_pk_mul_f16 v191, v191, v212 op_sel_hi:[1,0]
	v_pk_mul_f16 v47, v212, v47 op_sel_hi:[0,1]
	buffer_store_dword v190, off, s[0:3], 0
	buffer_store_dword v46, off, s[0:3], 0 offset:16
	buffer_store_dword v189, off, s[0:3], 0 offset:4
	;; [unrolled: 1-line block ×3, first 2 shown]
	v_pk_fma_f16 v190, v191, v32, v190 op_sel:[0,1,0]
	v_pk_fma_f16 v46, v191, v36, v46 op_sel:[0,1,0]
	;; [unrolled: 1-line block ×4, first 2 shown]
	v_lshrrev_b32_e32 v47, 16, v209
	v_cvt_f16_i16_sdwa v191, sext(v209) dst_sel:DWORD dst_unused:UNUSED_PAD src0_sel:BYTE_0
	v_cvt_f16_i16_sdwa v193, sext(v209) dst_sel:DWORD dst_unused:UNUSED_PAD src0_sel:BYTE_1
	v_pack_b32_f16 v191, v191, v193
	v_cvt_f16_i16_sdwa v193, sext(v47) dst_sel:DWORD dst_unused:UNUSED_PAD src0_sel:BYTE_0
	v_cvt_f16_i16_sdwa v47, sext(v47) dst_sel:DWORD dst_unused:UNUSED_PAD src0_sel:BYTE_1
	v_pack_b32_f16 v47, v193, v47
	v_pk_mul_f16 v191, v191, v210 op_sel_hi:[1,0]
	v_pk_mul_f16 v47, v210, v47 op_sel_hi:[0,1]
	buffer_store_dword v192, off, s[0:3], 0 offset:8
	buffer_store_dword v44, off, s[0:3], 0 offset:24
	buffer_store_dword v45, off, s[0:3], 0 offset:12
	buffer_store_dword v43, off, s[0:3], 0 offset:28
	v_pk_fma_f16 v192, v191, v32, v192 op_sel:[0,1,0]
	v_pk_fma_f16 v44, v191, v36, v44 op_sel:[0,1,0]
	;; [unrolled: 1-line block ×4, first 2 shown]
	s_waitcnt vmcnt(24)
	v_lshrrev_b32_e32 v43, 16, v203
	v_cvt_f16_i16_sdwa v45, sext(v203) dst_sel:DWORD dst_unused:UNUSED_PAD src0_sel:BYTE_0
	v_cvt_f16_i16_sdwa v47, sext(v203) dst_sel:DWORD dst_unused:UNUSED_PAD src0_sel:BYTE_1
	v_pack_b32_f16 v45, v45, v47
	v_cvt_f16_i16_sdwa v47, sext(v43) dst_sel:DWORD dst_unused:UNUSED_PAD src0_sel:BYTE_0
	v_cvt_f16_i16_sdwa v43, sext(v43) dst_sel:DWORD dst_unused:UNUSED_PAD src0_sel:BYTE_1
	v_pack_b32_f16 v43, v47, v43
	buffer_store_dword v42, off, s[0:3], 0 offset:20
	buffer_store_dword v32, off, s[0:3], 0 offset:12
	buffer_store_dword v36, off, s[0:3], 0 offset:28
	buffer_store_dword v44, off, s[0:3], 0 offset:24
	s_waitcnt vmcnt(16)
	v_pk_mul_f16 v45, v45, v41 op_sel_hi:[1,0]
	v_pk_mul_f16 v41, v41, v43 op_sel_hi:[0,1]
	v_pk_fma_f16 v200, v41, v33, v189 op_sel_hi:[1,0,1]
	v_pk_fma_f16 v201, v41, v37, v42 op_sel_hi:[1,0,1]
	v_lshrrev_b32_e32 v41, 16, v188
	v_cvt_f16_i16_sdwa v42, sext(v188) dst_sel:DWORD dst_unused:UNUSED_PAD src0_sel:BYTE_0
	v_cvt_f16_i16_sdwa v43, sext(v188) dst_sel:DWORD dst_unused:UNUSED_PAD src0_sel:BYTE_1
	v_pack_b32_f16 v42, v42, v43
	v_cvt_f16_i16_sdwa v43, sext(v41) dst_sel:DWORD dst_unused:UNUSED_PAD src0_sel:BYTE_0
	v_cvt_f16_i16_sdwa v41, sext(v41) dst_sel:DWORD dst_unused:UNUSED_PAD src0_sel:BYTE_1
	v_pack_b32_f16 v41, v43, v41
	v_pk_mul_f16 v42, v42, v40 op_sel_hi:[1,0]
	v_pk_mul_f16 v40, v40, v41 op_sel_hi:[0,1]
	v_pk_fma_f16 v32, v40, v33, v32 op_sel_hi:[1,0,1]
	v_pk_fma_f16 v36, v40, v37, v36 op_sel_hi:[1,0,1]
	v_add_co_u32_e32 v40, vcc, s8, v162
	v_addc_co_u32_e32 v41, vcc, v187, v119, vcc
	v_pk_fma_f16 v202, v42, v33, v192 op_sel_hi:[1,0,1]
	v_pk_fma_f16 v203, v42, v37, v44 op_sel_hi:[1,0,1]
	v_mad_u64_u32 v[42:43], s[16:17], v104, 34, v[40:41]
	v_add_co_u32_e32 v44, vcc, v42, v106
	v_pk_fma_f16 v198, v45, v33, v190 op_sel_hi:[1,0,1]
	v_pk_fma_f16 v199, v45, v37, v46 op_sel_hi:[1,0,1]
	v_addc_co_u32_e32 v45, vcc, 0, v43, vcc
	v_mad_u64_u32 v[40:41], s[16:17], v88, 34, v[40:41]
	global_load_dword v204, v[44:45], off offset:2
	v_add_co_u32_e32 v44, vcc, v40, v90
	v_addc_co_u32_e32 v45, vcc, 0, v41, vcc
	buffer_store_dword v46, off, s[0:3], 0 offset:16
	v_add_co_u32_e32 v46, vcc, s8, v164
	v_addc_co_u32_e32 v47, vcc, v187, v121, vcc
	buffer_store_dword v189, off, s[0:3], 0 offset:4
	v_mad_u64_u32 v[188:189], s[16:17], v104, 34, v[46:47]
	buffer_store_dword v190, off, s[0:3], 0
	v_add_co_u32_e32 v190, vcc, v188, v106
	v_addc_co_u32_e32 v191, vcc, 0, v189, vcc
	v_mad_u64_u32 v[46:47], s[16:17], v88, 34, v[46:47]
	buffer_store_dword v192, off, s[0:3], 0 offset:8
	v_add_co_u32_e32 v192, vcc, v46, v90
	buffer_store_dword v198, off, s[0:3], 0
	buffer_store_dword v199, off, s[0:3], 0 offset:16
	buffer_store_dword v200, off, s[0:3], 0 offset:4
	;; [unrolled: 1-line block ×6, first 2 shown]
	v_addc_co_u32_e32 v193, vcc, 0, v47, vcc
	global_load_dword v205, v[192:193], off offset:2
	global_load_ushort v206, v[46:47], off
	global_load_dword v207, v[190:191], off offset:2
	global_load_ushort v208, v[188:189], off
	global_load_dword v209, v[44:45], off offset:2
	global_load_ushort v210, v[40:41], off
	global_load_ushort v211, v[42:43], off
	v_lshrrev_b32_e32 v40, 16, v194
	v_cvt_f16_i16_sdwa v41, sext(v194) dst_sel:DWORD dst_unused:UNUSED_PAD src0_sel:BYTE_0
	v_cvt_f16_i16_sdwa v42, sext(v194) dst_sel:DWORD dst_unused:UNUSED_PAD src0_sel:BYTE_1
	v_pack_b32_f16 v41, v41, v42
	v_cvt_f16_i16_sdwa v42, sext(v40) dst_sel:DWORD dst_unused:UNUSED_PAD src0_sel:BYTE_0
	v_cvt_f16_i16_sdwa v40, sext(v40) dst_sel:DWORD dst_unused:UNUSED_PAD src0_sel:BYTE_1
	v_pk_mul_f16 v41, v41, v195 op_sel_hi:[1,0]
	v_pack_b32_f16 v40, v42, v40
	v_pk_mul_f16 v40, v195, v40 op_sel_hi:[0,1]
	v_pk_fma_f16 v194, v41, v33, v198 op_sel:[0,1,0]
	v_pk_fma_f16 v195, v41, v37, v199 op_sel:[0,1,0]
	v_cvt_f16_i16_sdwa v41, sext(v196) dst_sel:DWORD dst_unused:UNUSED_PAD src0_sel:BYTE_0
	v_cvt_f16_i16_sdwa v42, sext(v196) dst_sel:DWORD dst_unused:UNUSED_PAD src0_sel:BYTE_1
	v_pk_fma_f16 v198, v40, v33, v200 op_sel:[0,1,0]
	v_pk_fma_f16 v199, v40, v37, v201 op_sel:[0,1,0]
	v_lshrrev_b32_e32 v40, 16, v196
	v_pack_b32_f16 v41, v41, v42
	v_pk_mul_f16 v196, v41, v197 op_sel_hi:[1,0]
	v_cvt_f16_i16_sdwa v41, sext(v40) dst_sel:DWORD dst_unused:UNUSED_PAD src0_sel:BYTE_0
	v_cvt_f16_i16_sdwa v40, sext(v40) dst_sel:DWORD dst_unused:UNUSED_PAD src0_sel:BYTE_1
	v_pack_b32_f16 v40, v41, v40
	v_pk_mul_f16 v197, v197, v40 op_sel_hi:[0,1]
	v_add_co_u32_e32 v40, vcc, s8, v166
	v_addc_co_u32_e32 v41, vcc, v187, v123, vcc
	v_mad_u64_u32 v[42:43], s[16:17], v104, 34, v[40:41]
	v_add_co_u32_e32 v44, vcc, v42, v106
	v_addc_co_u32_e32 v45, vcc, 0, v43, vcc
	v_mad_u64_u32 v[40:41], s[16:17], v88, 34, v[40:41]
	global_load_dword v201, v[44:45], off offset:2
	v_add_co_u32_e32 v44, vcc, v40, v90
	v_addc_co_u32_e32 v45, vcc, 0, v41, vcc
	v_add_co_u32_e32 v46, vcc, s8, v168
	v_addc_co_u32_e32 v47, vcc, v187, v125, vcc
	v_mad_u64_u32 v[188:189], s[16:17], v104, 34, v[46:47]
	v_add_co_u32_e32 v190, vcc, v188, v106
	v_addc_co_u32_e32 v191, vcc, 0, v189, vcc
	v_mad_u64_u32 v[46:47], s[16:17], v88, 34, v[46:47]
	v_add_co_u32_e32 v192, vcc, v46, v90
	buffer_store_dword v36, off, s[0:3], 0 offset:28
	buffer_store_dword v194, off, s[0:3], 0
	buffer_store_dword v195, off, s[0:3], 0 offset:16
	buffer_store_dword v198, off, s[0:3], 0 offset:4
	;; [unrolled: 1-line block ×3, first 2 shown]
	v_addc_co_u32_e32 v193, vcc, 0, v47, vcc
	global_load_dword v187, v[192:193], off offset:2
	s_nop 0
	global_load_ushort v46, v[46:47], off
	s_nop 0
	global_load_dword v47, v[190:191], off offset:2
	s_nop 0
	global_load_ushort v188, v[188:189], off
	s_nop 0
	;; [unrolled: 4-line block ×3, first 2 shown]
	global_load_ushort v41, v[42:43], off
	v_pk_fma_f16 v200, v196, v33, v202 op_sel:[0,1,0]
	v_pk_fma_f16 v42, v196, v37, v203 op_sel:[0,1,0]
	;; [unrolled: 1-line block ×4, first 2 shown]
	s_waitcnt vmcnt(31)
	v_lshrrev_b32_e32 v36, 16, v204
	v_cvt_f16_i16_sdwa v37, sext(v204) dst_sel:DWORD dst_unused:UNUSED_PAD src0_sel:BYTE_0
	v_cvt_f16_i16_sdwa v43, sext(v204) dst_sel:DWORD dst_unused:UNUSED_PAD src0_sel:BYTE_1
	buffer_store_dword v42, off, s[0:3], 0 offset:24
	buffer_store_dword v32, off, s[0:3], 0 offset:12
	buffer_store_dword v33, off, s[0:3], 0 offset:28
	v_pack_b32_f16 v37, v37, v43
	v_cvt_f16_i16_sdwa v43, sext(v36) dst_sel:DWORD dst_unused:UNUSED_PAD src0_sel:BYTE_0
	v_cvt_f16_i16_sdwa v36, sext(v36) dst_sel:DWORD dst_unused:UNUSED_PAD src0_sel:BYTE_1
	v_pack_b32_f16 v36, v43, v36
	s_waitcnt vmcnt(20)
	v_cvt_f16_i16_sdwa v192, sext(v207) dst_sel:DWORD dst_unused:UNUSED_PAD src0_sel:BYTE_1
	buffer_store_dword v200, off, s[0:3], 0 offset:8
	s_waitcnt vmcnt(19)
	v_lshrrev_b32_e32 v189, 16, v209
	v_cvt_f16_i16_sdwa v190, sext(v209) dst_sel:DWORD dst_unused:UNUSED_PAD src0_sel:BYTE_0
	v_cvt_f16_i16_sdwa v191, sext(v209) dst_sel:DWORD dst_unused:UNUSED_PAD src0_sel:BYTE_1
	v_pack_b32_f16 v190, v190, v191
	v_cvt_f16_i16_sdwa v191, sext(v189) dst_sel:DWORD dst_unused:UNUSED_PAD src0_sel:BYTE_0
	v_cvt_f16_i16_sdwa v189, sext(v189) dst_sel:DWORD dst_unused:UNUSED_PAD src0_sel:BYTE_1
	v_pack_b32_f16 v189, v191, v189
	s_waitcnt vmcnt(18)
	v_pk_mul_f16 v190, v190, v210 op_sel_hi:[1,0]
	v_pk_mul_f16 v189, v210, v189 op_sel_hi:[0,1]
	v_pk_fma_f16 v191, v190, v34, v200 op_sel_hi:[1,0,1]
	v_pk_fma_f16 v42, v190, v38, v42 op_sel_hi:[1,0,1]
	;; [unrolled: 1-line block ×4, first 2 shown]
	v_lshrrev_b32_e32 v189, 16, v207
	v_cvt_f16_i16_sdwa v190, sext(v207) dst_sel:DWORD dst_unused:UNUSED_PAD src0_sel:BYTE_0
	v_pack_b32_f16 v190, v190, v192
	v_cvt_f16_i16_sdwa v192, sext(v189) dst_sel:DWORD dst_unused:UNUSED_PAD src0_sel:BYTE_0
	v_cvt_f16_i16_sdwa v189, sext(v189) dst_sel:DWORD dst_unused:UNUSED_PAD src0_sel:BYTE_1
	s_waitcnt vmcnt(17)
	v_pk_mul_f16 v37, v37, v211 op_sel_hi:[1,0]
	v_pk_mul_f16 v36, v211, v36 op_sel_hi:[0,1]
	v_pack_b32_f16 v189, v192, v189
	v_pk_fma_f16 v43, v37, v34, v194 op_sel_hi:[1,0,1]
	v_pk_fma_f16 v37, v37, v38, v195 op_sel_hi:[1,0,1]
	v_pk_fma_f16 v45, v36, v34, v198 op_sel_hi:[1,0,1]
	v_pk_fma_f16 v36, v36, v38, v199 op_sel_hi:[1,0,1]
	v_pk_mul_f16 v190, v190, v208 op_sel_hi:[1,0]
	v_pk_mul_f16 v189, v208, v189 op_sel_hi:[0,1]
	buffer_store_dword v43, off, s[0:3], 0
	buffer_store_dword v37, off, s[0:3], 0 offset:16
	buffer_store_dword v45, off, s[0:3], 0 offset:4
	;; [unrolled: 1-line block ×3, first 2 shown]
	v_pk_fma_f16 v43, v190, v34, v43 op_sel:[0,1,0]
	v_pk_fma_f16 v37, v190, v38, v37 op_sel:[0,1,0]
	;; [unrolled: 1-line block ×4, first 2 shown]
	v_lshrrev_b32_e32 v189, 16, v205
	v_cvt_f16_i16_sdwa v190, sext(v205) dst_sel:DWORD dst_unused:UNUSED_PAD src0_sel:BYTE_0
	v_cvt_f16_i16_sdwa v192, sext(v205) dst_sel:DWORD dst_unused:UNUSED_PAD src0_sel:BYTE_1
	v_pack_b32_f16 v190, v190, v192
	v_cvt_f16_i16_sdwa v192, sext(v189) dst_sel:DWORD dst_unused:UNUSED_PAD src0_sel:BYTE_0
	v_cvt_f16_i16_sdwa v189, sext(v189) dst_sel:DWORD dst_unused:UNUSED_PAD src0_sel:BYTE_1
	v_pack_b32_f16 v189, v192, v189
	v_pk_mul_f16 v190, v190, v206 op_sel_hi:[1,0]
	v_pk_mul_f16 v189, v206, v189 op_sel_hi:[0,1]
	buffer_store_dword v191, off, s[0:3], 0 offset:8
	buffer_store_dword v42, off, s[0:3], 0 offset:24
	;; [unrolled: 1-line block ×4, first 2 shown]
	v_pk_fma_f16 v191, v190, v34, v191 op_sel:[0,1,0]
	v_pk_fma_f16 v42, v190, v38, v42 op_sel:[0,1,0]
	v_pk_fma_f16 v32, v189, v34, v32 op_sel:[0,1,0]
	v_pk_fma_f16 v33, v189, v38, v33 op_sel:[0,1,0]
	s_waitcnt vmcnt(24)
	v_lshrrev_b32_e32 v34, 16, v201
	v_cvt_f16_i16_sdwa v38, sext(v201) dst_sel:DWORD dst_unused:UNUSED_PAD src0_sel:BYTE_0
	v_cvt_f16_i16_sdwa v189, sext(v201) dst_sel:DWORD dst_unused:UNUSED_PAD src0_sel:BYTE_1
	v_pack_b32_f16 v38, v38, v189
	v_cvt_f16_i16_sdwa v189, sext(v34) dst_sel:DWORD dst_unused:UNUSED_PAD src0_sel:BYTE_0
	v_cvt_f16_i16_sdwa v34, sext(v34) dst_sel:DWORD dst_unused:UNUSED_PAD src0_sel:BYTE_1
	v_pack_b32_f16 v34, v189, v34
	buffer_store_dword v43, off, s[0:3], 0
	buffer_store_dword v37, off, s[0:3], 0 offset:16
	buffer_store_dword v36, off, s[0:3], 0 offset:20
	;; [unrolled: 1-line block ×3, first 2 shown]
	s_waitcnt vmcnt(16)
	v_pk_mul_f16 v38, v38, v41 op_sel_hi:[1,0]
	v_pk_mul_f16 v34, v41, v34 op_sel_hi:[0,1]
	v_pk_fma_f16 v41, v38, v35, v43 op_sel_hi:[1,0,1]
	v_pk_fma_f16 v37, v38, v39, v37 op_sel_hi:[1,0,1]
	;; [unrolled: 1-line block ×4, first 2 shown]
	v_lshrrev_b32_e32 v36, 16, v44
	v_cvt_f16_i16_sdwa v43, sext(v44) dst_sel:DWORD dst_unused:UNUSED_PAD src0_sel:BYTE_0
	v_cvt_f16_i16_sdwa v44, sext(v44) dst_sel:DWORD dst_unused:UNUSED_PAD src0_sel:BYTE_1
	v_pack_b32_f16 v43, v43, v44
	v_cvt_f16_i16_sdwa v44, sext(v36) dst_sel:DWORD dst_unused:UNUSED_PAD src0_sel:BYTE_0
	v_cvt_f16_i16_sdwa v36, sext(v36) dst_sel:DWORD dst_unused:UNUSED_PAD src0_sel:BYTE_1
	v_pack_b32_f16 v36, v44, v36
	v_pk_mul_f16 v43, v43, v40 op_sel_hi:[1,0]
	v_pk_mul_f16 v36, v40, v36 op_sel_hi:[0,1]
	buffer_store_dword v32, off, s[0:3], 0 offset:12
	buffer_store_dword v33, off, s[0:3], 0 offset:28
	v_pk_fma_f16 v40, v43, v35, v191 op_sel_hi:[1,0,1]
	v_pk_fma_f16 v42, v43, v39, v42 op_sel_hi:[1,0,1]
	;; [unrolled: 1-line block ×4, first 2 shown]
	v_lshrrev_b32_e32 v36, 16, v47
	v_cvt_f16_i16_sdwa v43, sext(v47) dst_sel:DWORD dst_unused:UNUSED_PAD src0_sel:BYTE_0
	v_cvt_f16_i16_sdwa v44, sext(v47) dst_sel:DWORD dst_unused:UNUSED_PAD src0_sel:BYTE_1
	v_pack_b32_f16 v43, v43, v44
	v_cvt_f16_i16_sdwa v44, sext(v36) dst_sel:DWORD dst_unused:UNUSED_PAD src0_sel:BYTE_0
	v_cvt_f16_i16_sdwa v36, sext(v36) dst_sel:DWORD dst_unused:UNUSED_PAD src0_sel:BYTE_1
	v_pk_mul_f16 v43, v43, v188 op_sel_hi:[1,0]
	v_pack_b32_f16 v36, v44, v36
	buffer_store_dword v37, off, s[0:3], 0 offset:16
	v_pk_mul_f16 v36, v188, v36 op_sel_hi:[0,1]
	v_pk_fma_f16 v37, v43, v39, v37 op_sel:[0,1,0]
	buffer_store_dword v34, off, s[0:3], 0 offset:20
	buffer_store_dword v37, off, s[0:3], 0 offset:16
	v_pk_fma_f16 v37, v36, v35, v38 op_sel:[0,1,0]
	v_pk_fma_f16 v34, v36, v39, v34 op_sel:[0,1,0]
	buffer_store_dword v45, off, s[0:3], 0 offset:4
	buffer_store_dword v38, off, s[0:3], 0 offset:4
	;; [unrolled: 1-line block ×4, first 2 shown]
	v_lshrrev_b32_e32 v34, 16, v187
	v_cvt_f16_i16_sdwa v36, sext(v187) dst_sel:DWORD dst_unused:UNUSED_PAD src0_sel:BYTE_0
	v_cvt_f16_i16_sdwa v37, sext(v187) dst_sel:DWORD dst_unused:UNUSED_PAD src0_sel:BYTE_1
	v_pack_b32_f16 v36, v36, v37
	v_cvt_f16_i16_sdwa v37, sext(v34) dst_sel:DWORD dst_unused:UNUSED_PAD src0_sel:BYTE_0
	v_cvt_f16_i16_sdwa v34, sext(v34) dst_sel:DWORD dst_unused:UNUSED_PAD src0_sel:BYTE_1
	v_pack_b32_f16 v34, v37, v34
	s_add_u32 s8, s8, s52
	v_pk_mul_f16 v34, v46, v34 op_sel_hi:[0,1]
	s_addc_u32 s27, s27, 0
	s_lshl_b64 s[16:17], s[44:45], 1
	buffer_store_dword v32, off, s[0:3], 0 offset:12
	v_pk_fma_f16 v32, v34, v35, v32 op_sel:[0,1,0]
	s_add_u32 s36, s36, s16
	v_pk_mul_f16 v36, v36, v46 op_sel_hi:[1,0]
	buffer_store_dword v32, off, s[0:3], 0 offset:12
	v_pk_fma_f16 v32, v34, v39, v33 op_sel:[0,1,0]
	s_addc_u32 s37, s37, s17
	buffer_store_dword v41, off, s[0:3], 0
	buffer_store_dword v33, off, s[0:3], 0 offset:28
	v_pk_fma_f16 v41, v43, v35, v41 op_sel:[0,1,0]
	v_pk_fma_f16 v37, v36, v35, v40 op_sel:[0,1,0]
	;; [unrolled: 1-line block ×3, first 2 shown]
	buffer_store_dword v32, off, s[0:3], 0 offset:28
	s_cmp_ge_i32 s26, s41
	v_mov_b32_e32 v32, v172
	v_mov_b32_e32 v33, v173
	buffer_store_dword v191, off, s[0:3], 0 offset:8
	buffer_store_dword v40, off, s[0:3], 0 offset:8
	;; [unrolled: 1-line block ×3, first 2 shown]
	buffer_store_dword v41, off, s[0:3], 0
	buffer_store_dword v37, off, s[0:3], 0 offset:8
	buffer_store_dword v36, off, s[0:3], 0 offset:24
	s_cbranch_scc1 .LBB31_70
.LBB31_22:                              ; =>This Inner Loop Header: Depth=1
	v_mov_b32_e32 v35, s49
	v_add_co_u32_e32 v34, vcc, s42, v96
	v_addc_co_u32_e32 v35, vcc, v35, v1, vcc
	global_load_dword v37, v[34:35], off
	global_load_ushort v36, v[34:35], off offset:4
	global_load_dword v39, v[34:35], off offset:22
	global_load_ushort v38, v[34:35], off offset:26
	global_load_dword v40, v[34:35], off offset:44
	global_load_ushort v44, v[34:35], off offset:48
	v_add_co_u32_e32 v42, vcc, v34, v50
	v_addc_co_u32_e32 v43, vcc, 0, v35, vcc
	global_load_dword v45, v[42:43], off offset:6
	global_load_dword v46, v[42:43], off offset:28
	;; [unrolled: 1-line block ×4, first 2 shown]
	global_load_ushort v188, v[34:35], off offset:70
	global_load_dword v189, v[42:43], off offset:72
	global_load_dword v190, v[42:43], off offset:94
	;; [unrolled: 1-line block ×5, first 2 shown]
	s_waitcnt vmcnt(9)
	v_and_b32_e32 v43, 0xf0f0f0f, v45
	v_perm_b32 v36, v37, v36, s48
	v_ashrrev_i32_e32 v42, v50, v36
	v_lshlrev_b32_e32 v173, 4, v42
	v_lshlrev_b32_e32 v187, 11, v42
	v_lshlrev_b32_e32 v197, 18, v42
	v_lshlrev_b32_e32 v198, 25, v42
	global_load_dword v42, v[34:35], off offset:88
	global_load_ushort v208, v[34:35], off offset:92
	v_perm_b32 v38, v39, v38, s48
	v_perm_b32 v191, v40, v44, s48
	v_lshrrev_b32_e32 v44, 4, v45
	v_ashrrev_i32_e32 v36, v143, v36
	v_ashrrev_i32_e32 v45, v50, v38
	;; [unrolled: 1-line block ×3, first 2 shown]
	v_and_b32_e32 v211, 0x1000, v187
	v_and_b32_e32 v187, 0x100000, v197
	;; [unrolled: 1-line block ×3, first 2 shown]
	s_waitcnt vmcnt(10)
	v_and_b32_e32 v172, 0xf0f0f0f, v46
	v_lshrrev_b32_e32 v46, 4, v46
	v_lshlrev_b32_e32 v199, 4, v36
	v_lshlrev_b32_e32 v200, 11, v36
	;; [unrolled: 1-line block ×12, first 2 shown]
	v_or3_b32 v43, v197, v43, v187
	global_load_dword v187, v[34:35], off offset:110
	global_load_ushort v197, v[34:35], off offset:114
	v_and_b32_e32 v44, 0xf0f0f0f, v44
	v_and_b32_e32 v46, 0xf0f0f0f, v46
	;; [unrolled: 1-line block ×14, first 2 shown]
	v_ashrrev_i32_e32 v194, v50, v191
	v_or3_b32 v36, v36, v44, v200
	v_or3_b32 v44, v45, v172, v203
	;; [unrolled: 1-line block ×6, first 2 shown]
	v_lshlrev_b32_e32 v36, 18, v194
	v_lshlrev_b32_e32 v38, 25, v194
	s_waitcnt vmcnt(11)
	v_and_b32_e32 v195, 0xf0f0f0f, v47
	v_lshlrev_b32_e32 v209, 4, v194
	v_lshlrev_b32_e32 v210, 11, v194
	v_and_b32_e32 v36, 0x100000, v36
	v_and_b32_e32 v38, 0x10000000, v38
	;; [unrolled: 1-line block ×5, first 2 shown]
	v_or3_b32 v36, v38, v195, v36
	v_ashrrev_i32_e32 v38, v143, v191
	v_or3_b32 v173, v43, v173, v211
	v_or3_b32 v43, v36, v207, v209
	v_lshrrev_b32_e32 v36, 4, v47
	v_lshlrev_b32_e32 v45, 4, v38
	v_lshlrev_b32_e32 v47, 11, v38
	;; [unrolled: 1-line block ×4, first 2 shown]
	v_and_b32_e32 v36, 0xf0f0f0f, v36
	v_and_b32_e32 v191, 0x100000, v191
	;; [unrolled: 1-line block ×5, first 2 shown]
	v_or3_b32 v36, v38, v36, v191
	global_load_dword v191, v[34:35], off offset:132
	global_load_ushort v38, v[34:35], off offset:136
	v_or3_b32 v45, v36, v45, v47
	s_waitcnt vmcnt(11)
	v_perm_b32 v36, v41, v188, s48
	v_ashrrev_i32_e32 v47, v50, v36
	v_lshlrev_b32_e32 v188, 4, v47
	v_lshlrev_b32_e32 v195, 11, v47
	;; [unrolled: 1-line block ×4, first 2 shown]
	s_waitcnt vmcnt(10)
	v_and_b32_e32 v194, 0xf0f0f0f, v189
	v_and_b32_e32 v198, 0x100000, v198
	;; [unrolled: 1-line block ×5, first 2 shown]
	v_or3_b32 v47, v47, v194, v198
	v_ashrrev_i32_e32 v36, v143, v36
	v_or3_b32 v47, v47, v188, v195
	v_lshrrev_b32_e32 v188, 4, v189
	v_lshlrev_b32_e32 v189, 4, v36
	v_lshlrev_b32_e32 v194, 11, v36
	;; [unrolled: 1-line block ×4, first 2 shown]
	v_and_b32_e32 v188, 0xf0f0f0f, v188
	v_and_b32_e32 v195, 0x100000, v195
	;; [unrolled: 1-line block ×3, first 2 shown]
	v_or3_b32 v36, v36, v188, v195
	global_load_dword v195, v[34:35], off offset:154
	global_load_ushort v198, v[34:35], off offset:158
	v_and_b32_e32 v189, 16, v189
	v_and_b32_e32 v194, 0x1000, v194
	v_or3_b32 v34, v36, v189, v194
	s_waitcnt vmcnt(6)
	v_perm_b32 v36, v42, v208, s48
	v_ashrrev_i32_e32 v35, v50, v36
	v_lshlrev_b32_e32 v188, 4, v35
	v_lshlrev_b32_e32 v194, 11, v35
	v_lshlrev_b32_e32 v199, 18, v35
	v_lshlrev_b32_e32 v35, 25, v35
	v_and_b32_e32 v189, 0xf0f0f0f, v190
	v_and_b32_e32 v199, 0x100000, v199
	v_and_b32_e32 v35, 0x10000000, v35
	v_and_b32_e32 v188, 16, v188
	v_and_b32_e32 v194, 0x1000, v194
	v_or3_b32 v35, v35, v189, v199
	v_ashrrev_i32_e32 v36, v143, v36
	v_or3_b32 v35, v35, v188, v194
	v_lshrrev_b32_e32 v188, 4, v190
	v_lshlrev_b32_e32 v189, 4, v36
	v_lshlrev_b32_e32 v190, 11, v36
	v_lshlrev_b32_e32 v194, 18, v36
	v_lshlrev_b32_e32 v36, 25, v36
	v_and_b32_e32 v188, 0xf0f0f0f, v188
	v_and_b32_e32 v194, 0x100000, v194
	v_and_b32_e32 v36, 0x10000000, v36
	v_and_b32_e32 v189, 16, v189
	v_and_b32_e32 v190, 0x1000, v190
	v_or3_b32 v36, v36, v188, v194
	v_or3_b32 v188, v36, v189, v190
	s_waitcnt vmcnt(4)
	v_perm_b32 v36, v187, v197, s48
	v_ashrrev_i32_e32 v189, v50, v36
	v_lshlrev_b32_e32 v190, 4, v189
	v_lshlrev_b32_e32 v197, 11, v189
	v_lshlrev_b32_e32 v199, 18, v189
	v_lshlrev_b32_e32 v189, 25, v189
	v_and_b32_e32 v194, 0xf0f0f0f, v192
	v_and_b32_e32 v199, 0x100000, v199
	v_and_b32_e32 v189, 0x10000000, v189
	v_and_b32_e32 v190, 16, v190
	v_and_b32_e32 v197, 0x1000, v197
	v_or3_b32 v189, v189, v194, v199
	v_ashrrev_i32_e32 v36, v143, v36
	v_or3_b32 v189, v189, v190, v197
	v_lshrrev_b32_e32 v190, 4, v192
	v_lshlrev_b32_e32 v192, 4, v36
	v_lshlrev_b32_e32 v194, 11, v36
	v_lshlrev_b32_e32 v197, 18, v36
	v_lshlrev_b32_e32 v36, 25, v36
	v_and_b32_e32 v190, 0xf0f0f0f, v190
	v_and_b32_e32 v197, 0x100000, v197
	v_and_b32_e32 v36, 0x10000000, v36
	v_and_b32_e32 v192, 16, v192
	v_and_b32_e32 v194, 0x1000, v194
	v_or3_b32 v36, v36, v190, v197
	;; [unrolled: 27-line block ×3, first 2 shown]
	v_or3_b32 v193, v36, v193, v194
	s_waitcnt vmcnt(0)
	v_perm_b32 v36, v195, v198, s48
	v_ashrrev_i32_e32 v38, v50, v36
	v_lshlrev_b32_e32 v194, 4, v38
	v_lshlrev_b32_e32 v198, 11, v38
	v_lshlrev_b32_e32 v199, 18, v38
	v_lshlrev_b32_e32 v38, 25, v38
	v_and_b32_e32 v197, 0xf0f0f0f, v196
	v_and_b32_e32 v199, 0x100000, v199
	;; [unrolled: 1-line block ×5, first 2 shown]
	v_or3_b32 v38, v38, v197, v199
	v_ashrrev_i32_e32 v36, v143, v36
	v_or3_b32 v194, v38, v194, v198
	v_lshrrev_b32_e32 v38, 4, v196
	v_lshlrev_b32_e32 v196, 4, v36
	v_lshlrev_b32_e32 v197, 11, v36
	;; [unrolled: 1-line block ×4, first 2 shown]
	v_and_b32_e32 v38, 0xf0f0f0f, v38
	v_and_b32_e32 v198, 0x100000, v198
	;; [unrolled: 1-line block ×3, first 2 shown]
	v_or3_b32 v36, v36, v38, v198
	v_mov_b32_e32 v38, 0
	v_mov_b32_e32 v198, 0
	v_dot4c_i32_i8_e32 v38, v173, v52
	v_dot4c_i32_i8_e32 v198, v172, v53
	v_and_b32_e32 v196, 16, v196
	v_and_b32_e32 v197, 0x1000, v197
	v_cvt_f32_i32_e32 v38, v38
	v_cvt_f32_i32_e32 v198, v198
	v_or3_b32 v196, v36, v196, v197
	v_mov_b32_e32 v197, 0
	v_fma_f32 v36, v0, v38, -v149
	v_fma_f32 v38, v0, v198, -v149
	v_dot4c_i32_i8_e32 v197, v46, v54
	v_mov_b32_e32 v198, 0
	v_dot4c_i32_i8_e32 v198, v44, v55
	v_fma_mix_f32 v36, v36, v37, 0 op_sel_hi:[0,1,0]
	v_cvt_f32_i32_e32 v197, v197
	v_fma_mix_f32 v36, v38, v37, v36 op_sel_hi:[0,1,0]
	v_cvt_f32_i32_e32 v198, v198
	v_fma_f32 v38, v2, v197, -v151
	v_mov_b32_e32 v197, 0
	v_fma_mix_f32 v36, v38, v39, v36 op_sel_hi:[0,1,0]
	v_fma_f32 v38, v2, v198, -v151
	v_dot4c_i32_i8_e32 v197, v43, v56
	v_mov_b32_e32 v198, 0
	v_dot4c_i32_i8_e32 v198, v45, v57
	v_fma_mix_f32 v36, v38, v39, v36 op_sel_hi:[0,1,0]
	v_cvt_f32_i32_e32 v197, v197
	v_fma_f32 v38, v4, v197, -v153
	v_cvt_f32_i32_e32 v198, v198
	v_mov_b32_e32 v197, 0
	v_fma_mix_f32 v36, v38, v40, v36 op_sel_hi:[0,1,0]
	v_dot4c_i32_i8_e32 v197, v47, v58
	v_fma_f32 v38, v4, v198, -v153
	v_mov_b32_e32 v198, 0
	v_dot4c_i32_i8_e32 v198, v34, v59
	v_cvt_f32_i32_e32 v197, v197
	v_fma_mix_f32 v36, v38, v40, v36 op_sel_hi:[0,1,0]
	v_fma_f32 v38, v6, v197, -v155
	v_cvt_f32_i32_e32 v198, v198
	v_mov_b32_e32 v197, 0
	v_fma_mix_f32 v36, v38, v41, v36 op_sel_hi:[0,1,0]
	v_dot4c_i32_i8_e32 v197, v35, v60
	v_fma_f32 v38, v6, v198, -v155
	v_mov_b32_e32 v198, 0
	v_dot4c_i32_i8_e32 v198, v188, v61
	v_cvt_f32_i32_e32 v197, v197
	v_fma_mix_f32 v36, v38, v41, v36 op_sel_hi:[0,1,0]
	;; [unrolled: 10-line block ×5, first 2 shown]
	v_fma_f32 v38, v14, v197, -v163
	v_cvt_f32_i32_e32 v198, v198
	v_fma_mix_f32 v36, v38, v195, v36 op_sel_hi:[0,1,0]
	v_fma_f32 v38, v14, v198, -v163
	v_fma_mix_f32 v36, v38, v195, v36 op_sel_hi:[0,1,0]
	ds_bpermute_b32 v38, v145, v36
	s_waitcnt lgkmcnt(0)
	v_add_f32_e32 v36, v36, v38
	ds_bpermute_b32 v38, v147, v36
	s_waitcnt lgkmcnt(0)
	v_add_f32_e32 v36, v36, v38
	v_cmp_nlt_f32_e64 s[16:17], |v36|, s53
                                        ; implicit-def: $vgpr38
	s_and_saveexec_b64 s[18:19], s[16:17]
	s_xor_b64 s[16:17], exec, s[18:19]
	s_cbranch_execz .LBB31_24
; %bb.23:                               ;   in Loop: Header=BB31_22 Depth=1
	v_add_f32_e64 v38, |v36|, |v36|
	v_mul_f32_e32 v197, 0x3fb8aa3b, v38
	v_rndne_f32_e32 v198, v197
	v_sub_f32_e32 v199, v197, v198
	v_fma_f32 v197, v38, s54, -v197
	v_fmac_f32_e32 v197, 0x32a5705f, v38
	v_add_f32_e32 v197, v199, v197
	v_cvt_i32_f32_e32 v198, v198
	v_exp_f32_e32 v197, v197
	v_cmp_ngt_f32_e32 vcc, s55, v38
	v_ldexp_f32 v197, v197, v198
	v_cndmask_b32_e32 v197, 0, v197, vcc
	v_cmp_nlt_f32_e32 vcc, s56, v38
	v_cndmask_b32_e32 v38, v186, v197, vcc
	v_add_f32_e32 v38, 1.0, v38
	v_rcp_f32_e32 v38, v38
	v_fma_f32 v38, v38, -2.0, 1.0
.LBB31_24:                              ;   in Loop: Header=BB31_22 Depth=1
	s_andn2_saveexec_b64 s[16:17], s[16:17]
; %bb.25:                               ;   in Loop: Header=BB31_22 Depth=1
	v_mul_f32_e32 v38, v36, v36
	v_mov_b32_e32 v197, 0x3ca908c9
	v_fmac_f32_e32 v197, 0xbbbac73d, v38
	v_fma_f32 v197, v38, v197, v183
	v_fma_f32 v197, v38, v197, v184
	;; [unrolled: 1-line block ×3, first 2 shown]
	v_mul_f32_e64 v197, |v36|, v197
	v_fma_f32 v38, v38, v197, |v36|
; %bb.26:                               ;   in Loop: Header=BB31_22 Depth=1
	s_or_b64 exec, exec, s[16:17]
	v_bfi_b32 v36, s57, v38, v36
	v_cndmask_b32_e64 v38, 0, 1, s[22:23]
	v_mul_f32_e32 v36, s43, v36
	v_cmp_ne_u32_e64 s[16:17], 1, v38
	s_andn2_b64 vcc, exec, s[22:23]
	v_lshlrev_b32_e32 v38, 1, v84
	s_cbranch_vccnz .LBB31_28
; %bb.27:                               ;   in Loop: Header=BB31_22 Depth=1
	global_load_ushort v197, v38, s[36:37]
	s_waitcnt vmcnt(0)
	v_fma_mix_f32 v36, v139, v197, v36 op_sel_hi:[0,1,0]
.LBB31_28:                              ;   in Loop: Header=BB31_22 Depth=1
	v_mov_b32_e32 v197, 0
	v_dot4c_i32_i8_e32 v197, v173, v68
	v_cvt_f32_f16_e32 v37, v37
	v_cvt_f32_f16_e32 v39, v39
	;; [unrolled: 1-line block ×3, first 2 shown]
	v_cvt_f32_i32_e32 v173, v197
	v_mov_b32_e32 v197, 0
	v_dot4c_i32_i8_e32 v197, v172, v69
	v_cvt_f32_f16_e32 v41, v41
	v_fma_f32 v173, v16, v173, -v165
	v_fma_f32 v173, v173, v37, 0
	v_cvt_f32_i32_e32 v172, v197
	v_mov_b32_e32 v197, 0
	v_dot4c_i32_i8_e32 v197, v46, v70
	v_cvt_f32_f16_e32 v42, v42
	v_fma_f32 v172, v16, v172, -v165
	v_fmac_f32_e32 v173, v172, v37
	v_cvt_f32_i32_e32 v46, v197
	v_mov_b32_e32 v197, 0
	v_dot4c_i32_i8_e32 v197, v44, v71
	v_cvt_f32_f16_e32 v187, v187
	v_fma_f32 v37, v18, v46, -v167
	v_fmac_f32_e32 v173, v37, v39
	v_cvt_f32_i32_e32 v44, v197
	v_cvt_f32_f16_e32 v191, v191
	v_cvt_f32_f16_e32 v195, v195
	v_fma_f32 v37, v18, v44, -v167
	v_mov_b32_e32 v44, 0
	v_dot4c_i32_i8_e32 v44, v43, v72
	v_fmac_f32_e32 v173, v37, v39
	v_mov_b32_e32 v39, 0
	v_dot4c_i32_i8_e32 v39, v47, v74
	v_cvt_f32_i32_e32 v43, v44
	v_mov_b32_e32 v44, 0
	v_dot4c_i32_i8_e32 v44, v45, v73
	v_cvt_f32_i32_e32 v39, v39
	v_fma_f32 v37, v20, v43, -v169
	v_fmac_f32_e32 v173, v37, v40
	v_cvt_f32_i32_e32 v44, v44
	v_mov_b32_e32 v43, 0
	v_dot4c_i32_i8_e32 v43, v34, v75
	v_fma_f32 v37, v20, v44, -v169
	v_fmac_f32_e32 v173, v37, v40
	v_fma_f32 v37, v22, v39, -v174
	v_fmac_f32_e32 v173, v37, v41
	v_mov_b32_e32 v37, 0
	v_dot4c_i32_i8_e32 v37, v35, v76
	v_cvt_f32_i32_e32 v34, v43
	v_fma_f32 v34, v22, v34, -v174
	s_nop 0
	v_cvt_f32_i32_e32 v35, v37
	v_mov_b32_e32 v37, 0
	v_dot4c_i32_i8_e32 v37, v188, v77
	v_fmac_f32_e32 v173, v34, v41
	v_fma_f32 v34, v24, v35, -v175
	v_mov_b32_e32 v35, 0
	v_cvt_f32_i32_e32 v37, v37
	v_fmac_f32_e32 v173, v34, v42
	v_dot4c_i32_i8_e32 v35, v189, v78
	v_fma_f32 v34, v24, v37, -v175
	v_mov_b32_e32 v37, 0
	s_nop 0
	v_cvt_f32_i32_e32 v35, v35
	v_dot4c_i32_i8_e32 v37, v190, v79
	v_fmac_f32_e32 v173, v34, v42
	v_fma_f32 v34, v26, v35, -v176
	s_nop 0
	v_cvt_f32_i32_e32 v37, v37
	v_mov_b32_e32 v35, 0
	v_fmac_f32_e32 v173, v34, v187
	v_dot4c_i32_i8_e32 v35, v192, v80
	v_fma_f32 v34, v26, v37, -v176
	v_mov_b32_e32 v37, 0
	v_dot4c_i32_i8_e32 v37, v193, v81
	v_cvt_f32_i32_e32 v35, v35
	v_fmac_f32_e32 v173, v34, v187
	v_fma_f32 v34, v28, v35, -v177
	v_cvt_f32_i32_e32 v37, v37
	v_mov_b32_e32 v35, 0
	v_fmac_f32_e32 v173, v34, v191
	v_dot4c_i32_i8_e32 v35, v194, v82
	v_fma_f32 v34, v28, v37, -v177
	v_mov_b32_e32 v37, 0
	v_dot4c_i32_i8_e32 v37, v196, v83
	v_cvt_f32_i32_e32 v35, v35
	v_fmac_f32_e32 v173, v34, v191
	v_fma_f32 v34, v30, v35, -v178
	v_cvt_f32_i32_e32 v37, v37
	v_fmac_f32_e32 v173, v34, v195
	v_fma_f32 v34, v30, v37, -v178
	v_fmac_f32_e32 v173, v34, v195
	ds_bpermute_b32 v34, v145, v173
	s_waitcnt lgkmcnt(0)
	v_add_f32_e32 v34, v173, v34
	ds_bpermute_b32 v35, v147, v34
	s_waitcnt lgkmcnt(0)
	v_add_f32_e32 v34, v34, v35
	v_cmp_nlt_f32_e64 s[18:19], |v34|, s53
                                        ; implicit-def: $vgpr35
	s_and_saveexec_b64 s[38:39], s[18:19]
	s_xor_b64 s[18:19], exec, s[38:39]
	s_cbranch_execz .LBB31_30
; %bb.29:                               ;   in Loop: Header=BB31_22 Depth=1
	v_add_f32_e64 v35, |v34|, |v34|
	v_mul_f32_e32 v37, 0x3fb8aa3b, v35
	v_rndne_f32_e32 v39, v37
	v_sub_f32_e32 v40, v37, v39
	v_fma_f32 v37, v35, s54, -v37
	v_fmac_f32_e32 v37, 0x32a5705f, v35
	v_add_f32_e32 v37, v40, v37
	v_cvt_i32_f32_e32 v39, v39
	v_exp_f32_e32 v37, v37
	v_cmp_ngt_f32_e32 vcc, s55, v35
	v_ldexp_f32 v37, v37, v39
	v_cndmask_b32_e32 v37, 0, v37, vcc
	v_cmp_nlt_f32_e32 vcc, s56, v35
	v_cndmask_b32_e32 v35, v186, v37, vcc
	v_add_f32_e32 v35, 1.0, v35
	v_rcp_f32_e32 v35, v35
	v_fma_f32 v35, v35, -2.0, 1.0
.LBB31_30:                              ;   in Loop: Header=BB31_22 Depth=1
	s_andn2_saveexec_b64 s[18:19], s[18:19]
; %bb.31:                               ;   in Loop: Header=BB31_22 Depth=1
	v_mul_f32_e32 v35, v34, v34
	v_mov_b32_e32 v37, 0x3ca908c9
	v_fmac_f32_e32 v37, 0xbbbac73d, v35
	v_fma_f32 v37, v35, v37, v183
	v_fma_f32 v37, v35, v37, v184
	;; [unrolled: 1-line block ×3, first 2 shown]
	v_mul_f32_e64 v37, |v34|, v37
	v_fma_f32 v35, v35, v37, |v34|
; %bb.32:                               ;   in Loop: Header=BB31_22 Depth=1
	s_or_b64 exec, exec, s[18:19]
	v_bfi_b32 v34, s57, v35, v34
	v_cndmask_b32_e64 v35, 0, 1, s[46:47]
	v_cmp_ne_u32_e64 s[18:19], 1, v35
	s_andn2_b64 vcc, exec, s[46:47]
	v_mul_f32_e32 v37, s43, v34
	s_cbranch_vccnz .LBB31_34
; %bb.33:                               ;   in Loop: Header=BB31_22 Depth=1
	v_mov_b32_e32 v35, s37
	v_add_co_u32_e32 v34, vcc, s36, v92
	v_addc_co_u32_e32 v35, vcc, v35, v93, vcc
	global_load_ushort v34, v[34:35], off
	s_waitcnt vmcnt(0)
	v_fma_mix_f32 v37, v139, v34, v37 op_sel_hi:[0,1,0]
.LBB31_34:                              ;   in Loop: Header=BB31_22 Depth=1
	v_mov_b32_e32 v35, s49
	v_add_co_u32_e32 v34, vcc, s42, v98
	v_addc_co_u32_e32 v35, vcc, v35, v3, vcc
	global_load_dword v40, v[34:35], off
	global_load_ushort v39, v[34:35], off offset:4
	global_load_dword v41, v[34:35], off offset:22
	global_load_ushort v46, v[34:35], off offset:26
	global_load_dword v42, v[34:35], off offset:44
	global_load_ushort v47, v[34:35], off offset:48
	v_add_co_u32_e32 v44, vcc, v34, v50
	v_addc_co_u32_e32 v45, vcc, 0, v35, vcc
	global_load_dword v172, v[44:45], off offset:6
	global_load_dword v173, v[44:45], off offset:28
	;; [unrolled: 1-line block ×4, first 2 shown]
	global_load_ushort v191, v[34:35], off offset:70
	global_load_dword v192, v[44:45], off offset:72
	global_load_dword v194, v[44:45], off offset:94
	;; [unrolled: 1-line block ×5, first 2 shown]
	s_waitcnt vmcnt(14)
	v_perm_b32 v39, v40, v39, s48
	v_ashrrev_i32_e32 v45, v50, v39
	s_waitcnt vmcnt(12)
	v_perm_b32 v44, v41, v46, s48
	v_ashrrev_i32_e32 v187, v50, v44
	v_ashrrev_i32_e32 v44, v143, v44
	v_lshlrev_b32_e32 v207, 4, v44
	v_lshlrev_b32_e32 v208, 11, v44
	;; [unrolled: 1-line block ×4, first 2 shown]
	global_load_dword v44, v[34:35], off offset:88
	global_load_ushort v211, v[34:35], off offset:92
	v_ashrrev_i32_e32 v39, v143, v39
	s_waitcnt vmcnt(11)
	v_and_b32_e32 v46, 0xf0f0f0f, v172
	v_lshrrev_b32_e32 v172, 4, v172
	v_lshlrev_b32_e32 v189, 4, v45
	v_lshlrev_b32_e32 v199, 11, v45
	;; [unrolled: 1-line block ×8, first 2 shown]
	v_and_b32_e32 v172, 0xf0f0f0f, v172
	v_and_b32_e32 v214, 16, v189
	;; [unrolled: 1-line block ×8, first 2 shown]
	v_or3_b32 v45, v45, v46, v189
	v_or3_b32 v39, v39, v172, v202
	global_load_dword v189, v[34:35], off offset:110
	global_load_ushort v202, v[34:35], off offset:114
	v_perm_b32 v47, v42, v47, s48
	v_lshlrev_b32_e32 v204, 4, v187
	v_lshlrev_b32_e32 v205, 11, v187
	;; [unrolled: 1-line block ×4, first 2 shown]
	s_waitcnt vmcnt(12)
	v_and_b32_e32 v188, 0xf0f0f0f, v173
	v_ashrrev_i32_e32 v193, v50, v47
	v_and_b32_e32 v199, 0x1000, v199
	v_and_b32_e32 v203, 16, v204
	;; [unrolled: 1-line block ×5, first 2 shown]
	v_lshrrev_b32_e32 v173, 4, v173
	v_or3_b32 v46, v187, v188, v205
	v_or3_b32 v188, v45, v214, v199
	;; [unrolled: 1-line block ×3, first 2 shown]
	v_lshlrev_b32_e32 v39, 18, v193
	v_lshlrev_b32_e32 v45, 25, v193
	s_waitcnt vmcnt(11)
	v_and_b32_e32 v197, 0xf0f0f0f, v190
	v_and_b32_e32 v173, 0xf0f0f0f, v173
	v_lshlrev_b32_e32 v212, 4, v193
	v_lshlrev_b32_e32 v213, 11, v193
	v_and_b32_e32 v206, 16, v207
	v_and_b32_e32 v207, 0x1000, v208
	;; [unrolled: 1-line block ×8, first 2 shown]
	v_or3_b32 v173, v209, v173, v208
	v_or3_b32 v39, v45, v197, v39
	v_ashrrev_i32_e32 v47, v143, v47
	v_or3_b32 v172, v46, v203, v204
	v_or3_b32 v46, v173, v206, v207
	;; [unrolled: 1-line block ×3, first 2 shown]
	v_lshrrev_b32_e32 v39, 4, v190
	v_lshlrev_b32_e32 v173, 4, v47
	v_lshlrev_b32_e32 v190, 11, v47
	;; [unrolled: 1-line block ×4, first 2 shown]
	v_and_b32_e32 v39, 0xf0f0f0f, v39
	v_and_b32_e32 v193, 0x100000, v193
	;; [unrolled: 1-line block ×5, first 2 shown]
	v_or3_b32 v39, v47, v39, v193
	global_load_dword v193, v[34:35], off offset:132
	global_load_ushort v199, v[34:35], off offset:136
	v_or3_b32 v47, v39, v173, v190
	s_waitcnt vmcnt(11)
	v_perm_b32 v39, v43, v191, s48
	v_ashrrev_i32_e32 v173, v50, v39
	v_lshlrev_b32_e32 v190, 4, v173
	v_lshlrev_b32_e32 v197, 11, v173
	;; [unrolled: 1-line block ×4, first 2 shown]
	s_waitcnt vmcnt(10)
	v_and_b32_e32 v191, 0xf0f0f0f, v192
	v_and_b32_e32 v200, 0x100000, v200
	;; [unrolled: 1-line block ×5, first 2 shown]
	v_or3_b32 v173, v173, v191, v200
	v_ashrrev_i32_e32 v39, v143, v39
	v_or3_b32 v173, v173, v190, v197
	v_lshrrev_b32_e32 v190, 4, v192
	v_lshlrev_b32_e32 v191, 4, v39
	v_lshlrev_b32_e32 v192, 11, v39
	;; [unrolled: 1-line block ×4, first 2 shown]
	v_and_b32_e32 v190, 0xf0f0f0f, v190
	v_and_b32_e32 v197, 0x100000, v197
	;; [unrolled: 1-line block ×3, first 2 shown]
	v_or3_b32 v39, v39, v190, v197
	global_load_dword v197, v[34:35], off offset:154
	global_load_ushort v200, v[34:35], off offset:158
	v_and_b32_e32 v191, 16, v191
	v_and_b32_e32 v192, 0x1000, v192
	v_or3_b32 v34, v39, v191, v192
	s_waitcnt vmcnt(6)
	v_perm_b32 v39, v44, v211, s48
	v_ashrrev_i32_e32 v35, v50, v39
	v_lshlrev_b32_e32 v190, 4, v35
	v_lshlrev_b32_e32 v192, 11, v35
	v_lshlrev_b32_e32 v201, 18, v35
	v_lshlrev_b32_e32 v35, 25, v35
	v_and_b32_e32 v191, 0xf0f0f0f, v194
	v_and_b32_e32 v201, 0x100000, v201
	v_and_b32_e32 v35, 0x10000000, v35
	v_and_b32_e32 v190, 16, v190
	v_and_b32_e32 v192, 0x1000, v192
	v_or3_b32 v35, v35, v191, v201
	v_ashrrev_i32_e32 v39, v143, v39
	v_or3_b32 v35, v35, v190, v192
	v_lshrrev_b32_e32 v190, 4, v194
	v_lshlrev_b32_e32 v191, 4, v39
	v_lshlrev_b32_e32 v192, 11, v39
	v_lshlrev_b32_e32 v194, 18, v39
	v_lshlrev_b32_e32 v39, 25, v39
	v_and_b32_e32 v190, 0xf0f0f0f, v190
	v_and_b32_e32 v194, 0x100000, v194
	v_and_b32_e32 v39, 0x10000000, v39
	v_and_b32_e32 v191, 16, v191
	v_and_b32_e32 v192, 0x1000, v192
	v_or3_b32 v39, v39, v190, v194
	v_or3_b32 v190, v39, v191, v192
	s_waitcnt vmcnt(4)
	v_perm_b32 v39, v189, v202, s48
	v_ashrrev_i32_e32 v191, v50, v39
	v_lshlrev_b32_e32 v192, 4, v191
	v_lshlrev_b32_e32 v201, 11, v191
	v_lshlrev_b32_e32 v202, 18, v191
	v_lshlrev_b32_e32 v191, 25, v191
	v_and_b32_e32 v194, 0xf0f0f0f, v195
	v_and_b32_e32 v202, 0x100000, v202
	v_and_b32_e32 v191, 0x10000000, v191
	v_and_b32_e32 v192, 16, v192
	v_and_b32_e32 v201, 0x1000, v201
	v_or3_b32 v191, v191, v194, v202
	v_ashrrev_i32_e32 v39, v143, v39
	v_or3_b32 v191, v191, v192, v201
	v_lshrrev_b32_e32 v192, 4, v195
	v_lshlrev_b32_e32 v194, 4, v39
	v_lshlrev_b32_e32 v195, 11, v39
	v_lshlrev_b32_e32 v201, 18, v39
	v_lshlrev_b32_e32 v39, 25, v39
	v_and_b32_e32 v192, 0xf0f0f0f, v192
	v_and_b32_e32 v201, 0x100000, v201
	v_and_b32_e32 v39, 0x10000000, v39
	v_and_b32_e32 v194, 16, v194
	v_and_b32_e32 v195, 0x1000, v195
	v_or3_b32 v39, v39, v192, v201
	;; [unrolled: 27-line block ×3, first 2 shown]
	v_or3_b32 v195, v39, v196, v199
	s_waitcnt vmcnt(0)
	v_perm_b32 v39, v197, v200, s48
	v_ashrrev_i32_e32 v196, v50, v39
	v_lshlrev_b32_e32 v199, 4, v196
	v_lshlrev_b32_e32 v201, 11, v196
	;; [unrolled: 1-line block ×4, first 2 shown]
	v_and_b32_e32 v200, 0xf0f0f0f, v198
	v_and_b32_e32 v202, 0x100000, v202
	;; [unrolled: 1-line block ×5, first 2 shown]
	v_or3_b32 v196, v196, v200, v202
	v_ashrrev_i32_e32 v39, v143, v39
	v_or3_b32 v196, v196, v199, v201
	v_lshrrev_b32_e32 v198, 4, v198
	v_lshlrev_b32_e32 v199, 4, v39
	v_lshlrev_b32_e32 v200, 11, v39
	v_lshlrev_b32_e32 v201, 18, v39
	v_lshlrev_b32_e32 v39, 25, v39
	v_and_b32_e32 v198, 0xf0f0f0f, v198
	v_and_b32_e32 v201, 0x100000, v201
	;; [unrolled: 1-line block ×3, first 2 shown]
	v_or3_b32 v39, v39, v198, v201
	v_mov_b32_e32 v198, 0
	v_dot4c_i32_i8_e32 v198, v188, v52
	v_and_b32_e32 v199, 16, v199
	v_and_b32_e32 v200, 0x1000, v200
	s_nop 0
	v_cvt_f32_i32_e32 v201, v198
	v_mov_b32_e32 v198, 0
	v_dot4c_i32_i8_e32 v198, v187, v53
	s_nop 2
	v_cvt_f32_i32_e32 v202, v198
	v_or3_b32 v198, v39, v199, v200
	v_mov_b32_e32 v200, 0
	v_fma_f32 v39, v0, v201, -v149
	v_dot4c_i32_i8_e32 v200, v172, v54
	v_mov_b32_e32 v201, 0
	v_dot4c_i32_i8_e32 v201, v46, v55
	v_fma_mix_f32 v39, v39, v40, 0 op_sel_hi:[0,1,0]
	v_cvt_f32_i32_e32 v200, v200
	v_fma_f32 v199, v0, v202, -v149
	v_cvt_f32_i32_e32 v201, v201
	v_fma_mix_f32 v39, v199, v40, v39 op_sel_hi:[0,1,0]
	v_fma_f32 v199, v2, v200, -v151
	v_mov_b32_e32 v200, 0
	v_fma_mix_f32 v39, v199, v41, v39 op_sel_hi:[0,1,0]
	v_fma_f32 v199, v2, v201, -v151
	v_dot4c_i32_i8_e32 v200, v45, v56
	v_mov_b32_e32 v201, 0
	v_dot4c_i32_i8_e32 v201, v47, v57
	v_fma_mix_f32 v39, v199, v41, v39 op_sel_hi:[0,1,0]
	v_cvt_f32_i32_e32 v200, v200
	v_fma_f32 v199, v4, v200, -v153
	v_cvt_f32_i32_e32 v201, v201
	v_mov_b32_e32 v200, 0
	v_fma_mix_f32 v39, v199, v42, v39 op_sel_hi:[0,1,0]
	v_dot4c_i32_i8_e32 v200, v173, v58
	v_fma_f32 v199, v4, v201, -v153
	v_mov_b32_e32 v201, 0
	v_dot4c_i32_i8_e32 v201, v34, v59
	v_cvt_f32_i32_e32 v200, v200
	v_fma_mix_f32 v39, v199, v42, v39 op_sel_hi:[0,1,0]
	v_fma_f32 v199, v6, v200, -v155
	v_cvt_f32_i32_e32 v201, v201
	v_mov_b32_e32 v200, 0
	v_fma_mix_f32 v39, v199, v43, v39 op_sel_hi:[0,1,0]
	v_dot4c_i32_i8_e32 v200, v35, v60
	v_fma_f32 v199, v6, v201, -v155
	v_mov_b32_e32 v201, 0
	v_dot4c_i32_i8_e32 v201, v190, v61
	v_cvt_f32_i32_e32 v200, v200
	v_fma_mix_f32 v39, v199, v43, v39 op_sel_hi:[0,1,0]
	;; [unrolled: 10-line block ×5, first 2 shown]
	v_fma_f32 v199, v14, v200, -v163
	v_cvt_f32_i32_e32 v201, v201
	v_fma_mix_f32 v39, v199, v197, v39 op_sel_hi:[0,1,0]
	v_fma_f32 v199, v14, v201, -v163
	v_fma_mix_f32 v39, v199, v197, v39 op_sel_hi:[0,1,0]
	ds_bpermute_b32 v199, v145, v39
	s_waitcnt lgkmcnt(0)
	v_add_f32_e32 v39, v39, v199
	ds_bpermute_b32 v199, v147, v39
	s_waitcnt lgkmcnt(0)
	v_add_f32_e32 v39, v39, v199
	v_cmp_nlt_f32_e64 s[38:39], |v39|, s53
                                        ; implicit-def: $vgpr199
	s_and_saveexec_b64 s[58:59], s[38:39]
	s_xor_b64 s[38:39], exec, s[58:59]
	s_cbranch_execz .LBB31_36
; %bb.35:                               ;   in Loop: Header=BB31_22 Depth=1
	v_add_f32_e64 v199, |v39|, |v39|
	v_mul_f32_e32 v200, 0x3fb8aa3b, v199
	v_rndne_f32_e32 v201, v200
	v_sub_f32_e32 v202, v200, v201
	v_fma_f32 v200, v199, s54, -v200
	v_fmac_f32_e32 v200, 0x32a5705f, v199
	v_add_f32_e32 v200, v202, v200
	v_cvt_i32_f32_e32 v201, v201
	v_exp_f32_e32 v200, v200
	v_cmp_ngt_f32_e32 vcc, s55, v199
	v_ldexp_f32 v200, v200, v201
	v_cndmask_b32_e32 v200, 0, v200, vcc
	v_cmp_nlt_f32_e32 vcc, s56, v199
	v_cndmask_b32_e32 v199, v186, v200, vcc
	v_add_f32_e32 v199, 1.0, v199
	v_rcp_f32_e32 v199, v199
	v_fma_f32 v199, v199, -2.0, 1.0
.LBB31_36:                              ;   in Loop: Header=BB31_22 Depth=1
	s_andn2_saveexec_b64 s[38:39], s[38:39]
; %bb.37:                               ;   in Loop: Header=BB31_22 Depth=1
	v_mul_f32_e32 v199, v39, v39
	v_mov_b32_e32 v200, 0x3ca908c9
	v_fmac_f32_e32 v200, 0xbbbac73d, v199
	v_fma_f32 v200, v199, v200, v183
	v_fma_f32 v200, v199, v200, v184
	;; [unrolled: 1-line block ×3, first 2 shown]
	v_mul_f32_e64 v200, |v39|, v200
	v_fma_f32 v199, v199, v200, |v39|
; %bb.38:                               ;   in Loop: Header=BB31_22 Depth=1
	s_or_b64 exec, exec, s[38:39]
	v_bfi_b32 v39, s57, v199, v39
	s_and_b64 vcc, exec, s[16:17]
	v_mul_f32_e32 v39, s43, v39
	s_cbranch_vccnz .LBB31_40
; %bb.39:                               ;   in Loop: Header=BB31_22 Depth=1
	global_load_ushort v199, v38, s[36:37] offset:2
	s_waitcnt vmcnt(0)
	v_fma_mix_f32 v39, v139, v199, v39 op_sel_hi:[0,1,0]
.LBB31_40:                              ;   in Loop: Header=BB31_22 Depth=1
	v_mov_b32_e32 v199, 0
	v_dot4c_i32_i8_e32 v199, v188, v68
	v_cvt_f32_f16_e32 v40, v40
	v_cvt_f32_f16_e32 v41, v41
	;; [unrolled: 1-line block ×3, first 2 shown]
	v_cvt_f32_i32_e32 v188, v199
	v_mov_b32_e32 v199, 0
	v_dot4c_i32_i8_e32 v199, v187, v69
	v_cvt_f32_f16_e32 v43, v43
	v_fma_f32 v188, v16, v188, -v165
	v_fma_f32 v188, v188, v40, 0
	v_cvt_f32_i32_e32 v187, v199
	v_mov_b32_e32 v199, 0
	v_dot4c_i32_i8_e32 v199, v172, v70
	v_cvt_f32_f16_e32 v44, v44
	v_fma_f32 v187, v16, v187, -v165
	v_fmac_f32_e32 v188, v187, v40
	v_cvt_f32_i32_e32 v172, v199
	v_mov_b32_e32 v199, 0
	v_dot4c_i32_i8_e32 v199, v46, v71
	v_cvt_f32_f16_e32 v189, v189
	v_fma_f32 v40, v18, v172, -v167
	v_fmac_f32_e32 v188, v40, v41
	v_cvt_f32_i32_e32 v46, v199
	v_cvt_f32_f16_e32 v193, v193
	v_cvt_f32_f16_e32 v197, v197
	v_fma_f32 v40, v18, v46, -v167
	v_mov_b32_e32 v46, 0
	v_dot4c_i32_i8_e32 v46, v45, v72
	v_fmac_f32_e32 v188, v40, v41
	v_mov_b32_e32 v41, 0
	v_dot4c_i32_i8_e32 v41, v173, v74
	v_cvt_f32_i32_e32 v45, v46
	v_mov_b32_e32 v46, 0
	v_dot4c_i32_i8_e32 v46, v47, v73
	v_cvt_f32_i32_e32 v41, v41
	v_fma_f32 v40, v20, v45, -v169
	v_fmac_f32_e32 v188, v40, v42
	v_cvt_f32_i32_e32 v46, v46
	v_mov_b32_e32 v45, 0
	v_dot4c_i32_i8_e32 v45, v34, v75
	v_fma_f32 v40, v20, v46, -v169
	v_fmac_f32_e32 v188, v40, v42
	v_fma_f32 v40, v22, v41, -v174
	v_fmac_f32_e32 v188, v40, v43
	v_mov_b32_e32 v40, 0
	v_dot4c_i32_i8_e32 v40, v35, v76
	v_cvt_f32_i32_e32 v34, v45
	v_fma_f32 v34, v22, v34, -v174
	s_nop 0
	v_cvt_f32_i32_e32 v35, v40
	v_mov_b32_e32 v40, 0
	v_dot4c_i32_i8_e32 v40, v190, v77
	v_fmac_f32_e32 v188, v34, v43
	v_fma_f32 v34, v24, v35, -v175
	v_mov_b32_e32 v35, 0
	v_cvt_f32_i32_e32 v40, v40
	v_fmac_f32_e32 v188, v34, v44
	v_dot4c_i32_i8_e32 v35, v191, v78
	v_fma_f32 v34, v24, v40, -v175
	v_mov_b32_e32 v40, 0
	s_nop 0
	v_cvt_f32_i32_e32 v35, v35
	v_dot4c_i32_i8_e32 v40, v192, v79
	v_fmac_f32_e32 v188, v34, v44
	v_fma_f32 v34, v26, v35, -v176
	s_nop 0
	v_cvt_f32_i32_e32 v40, v40
	v_mov_b32_e32 v35, 0
	v_fmac_f32_e32 v188, v34, v189
	v_dot4c_i32_i8_e32 v35, v194, v80
	v_fma_f32 v34, v26, v40, -v176
	v_mov_b32_e32 v40, 0
	v_dot4c_i32_i8_e32 v40, v195, v81
	v_cvt_f32_i32_e32 v35, v35
	v_fmac_f32_e32 v188, v34, v189
	v_fma_f32 v34, v28, v35, -v177
	v_cvt_f32_i32_e32 v40, v40
	v_mov_b32_e32 v35, 0
	v_fmac_f32_e32 v188, v34, v193
	v_dot4c_i32_i8_e32 v35, v196, v82
	v_fma_f32 v34, v28, v40, -v177
	v_mov_b32_e32 v40, 0
	v_dot4c_i32_i8_e32 v40, v198, v83
	v_cvt_f32_i32_e32 v35, v35
	v_fmac_f32_e32 v188, v34, v193
	v_fma_f32 v34, v30, v35, -v178
	v_cvt_f32_i32_e32 v40, v40
	v_fmac_f32_e32 v188, v34, v197
	v_fma_f32 v34, v30, v40, -v178
	v_fmac_f32_e32 v188, v34, v197
	ds_bpermute_b32 v34, v145, v188
	s_waitcnt lgkmcnt(0)
	v_add_f32_e32 v34, v188, v34
	ds_bpermute_b32 v35, v147, v34
	s_waitcnt lgkmcnt(0)
	v_add_f32_e32 v34, v34, v35
	v_cmp_nlt_f32_e64 s[38:39], |v34|, s53
                                        ; implicit-def: $vgpr35
	s_and_saveexec_b64 s[58:59], s[38:39]
	s_xor_b64 s[38:39], exec, s[58:59]
	s_cbranch_execz .LBB31_42
; %bb.41:                               ;   in Loop: Header=BB31_22 Depth=1
	v_add_f32_e64 v35, |v34|, |v34|
	v_mul_f32_e32 v40, 0x3fb8aa3b, v35
	v_rndne_f32_e32 v41, v40
	v_sub_f32_e32 v42, v40, v41
	v_fma_f32 v40, v35, s54, -v40
	v_fmac_f32_e32 v40, 0x32a5705f, v35
	v_add_f32_e32 v40, v42, v40
	v_cvt_i32_f32_e32 v41, v41
	v_exp_f32_e32 v40, v40
	v_cmp_ngt_f32_e32 vcc, s55, v35
	v_ldexp_f32 v40, v40, v41
	v_cndmask_b32_e32 v40, 0, v40, vcc
	v_cmp_nlt_f32_e32 vcc, s56, v35
	v_cndmask_b32_e32 v35, v186, v40, vcc
	v_add_f32_e32 v35, 1.0, v35
	v_rcp_f32_e32 v35, v35
	v_fma_f32 v35, v35, -2.0, 1.0
.LBB31_42:                              ;   in Loop: Header=BB31_22 Depth=1
	s_andn2_saveexec_b64 s[38:39], s[38:39]
; %bb.43:                               ;   in Loop: Header=BB31_22 Depth=1
	v_mul_f32_e32 v35, v34, v34
	v_mov_b32_e32 v40, 0x3ca908c9
	v_fmac_f32_e32 v40, 0xbbbac73d, v35
	v_fma_f32 v40, v35, v40, v183
	v_fma_f32 v40, v35, v40, v184
	;; [unrolled: 1-line block ×3, first 2 shown]
	v_mul_f32_e64 v40, |v34|, v40
	v_fma_f32 v35, v35, v40, |v34|
; %bb.44:                               ;   in Loop: Header=BB31_22 Depth=1
	s_or_b64 exec, exec, s[38:39]
	v_bfi_b32 v34, s57, v35, v34
	s_and_b64 vcc, exec, s[18:19]
	v_mul_f32_e32 v40, s43, v34
	s_cbranch_vccnz .LBB31_46
; %bb.45:                               ;   in Loop: Header=BB31_22 Depth=1
	v_mov_b32_e32 v35, s37
	v_add_co_u32_e32 v34, vcc, s36, v94
	v_addc_co_u32_e32 v35, vcc, v35, v95, vcc
	global_load_ushort v34, v[34:35], off offset:2
	s_waitcnt vmcnt(0)
	v_fma_mix_f32 v40, v139, v34, v40 op_sel_hi:[0,1,0]
.LBB31_46:                              ;   in Loop: Header=BB31_22 Depth=1
	v_mov_b32_e32 v35, s49
	v_add_co_u32_e32 v34, vcc, s42, v100
	v_addc_co_u32_e32 v35, vcc, v35, v5, vcc
	global_load_dword v42, v[34:35], off
	global_load_ushort v41, v[34:35], off offset:4
	global_load_dword v43, v[34:35], off offset:22
	global_load_ushort v172, v[34:35], off offset:26
	global_load_dword v44, v[34:35], off offset:44
	global_load_ushort v173, v[34:35], off offset:48
	v_add_co_u32_e32 v46, vcc, v34, v50
	v_addc_co_u32_e32 v47, vcc, 0, v35, vcc
	global_load_dword v187, v[46:47], off offset:6
	global_load_dword v188, v[46:47], off offset:28
	;; [unrolled: 1-line block ×4, first 2 shown]
	global_load_ushort v193, v[34:35], off offset:70
	global_load_dword v194, v[46:47], off offset:72
	global_load_dword v196, v[46:47], off offset:94
	global_load_dword v197, v[46:47], off offset:116
	global_load_dword v198, v[46:47], off offset:138
	global_load_dword v200, v[46:47], off offset:160
	s_waitcnt vmcnt(14)
	v_perm_b32 v41, v42, v41, s48
	v_ashrrev_i32_e32 v47, v50, v41
	s_waitcnt vmcnt(12)
	v_perm_b32 v46, v43, v172, s48
	v_ashrrev_i32_e32 v189, v50, v46
	v_ashrrev_i32_e32 v46, v143, v46
	v_lshlrev_b32_e32 v209, 4, v46
	v_lshlrev_b32_e32 v210, 11, v46
	;; [unrolled: 1-line block ×4, first 2 shown]
	global_load_dword v46, v[34:35], off offset:88
	global_load_ushort v213, v[34:35], off offset:92
	v_ashrrev_i32_e32 v41, v143, v41
	s_waitcnt vmcnt(11)
	v_and_b32_e32 v172, 0xf0f0f0f, v187
	v_lshrrev_b32_e32 v187, 4, v187
	v_lshlrev_b32_e32 v191, 4, v47
	v_lshlrev_b32_e32 v201, 11, v47
	;; [unrolled: 1-line block ×8, first 2 shown]
	v_and_b32_e32 v187, 0xf0f0f0f, v187
	v_and_b32_e32 v216, 16, v191
	;; [unrolled: 1-line block ×8, first 2 shown]
	v_or3_b32 v47, v47, v172, v191
	v_or3_b32 v41, v41, v187, v204
	global_load_dword v191, v[34:35], off offset:110
	global_load_ushort v204, v[34:35], off offset:114
	v_perm_b32 v173, v44, v173, s48
	v_lshlrev_b32_e32 v206, 4, v189
	v_lshlrev_b32_e32 v207, 11, v189
	v_lshlrev_b32_e32 v208, 18, v189
	v_lshlrev_b32_e32 v189, 25, v189
	s_waitcnt vmcnt(12)
	v_and_b32_e32 v190, 0xf0f0f0f, v188
	v_ashrrev_i32_e32 v195, v50, v173
	v_and_b32_e32 v201, 0x1000, v201
	v_and_b32_e32 v205, 16, v206
	;; [unrolled: 1-line block ×5, first 2 shown]
	v_lshrrev_b32_e32 v188, 4, v188
	v_or3_b32 v172, v189, v190, v207
	v_or3_b32 v190, v47, v216, v201
	;; [unrolled: 1-line block ×3, first 2 shown]
	v_lshlrev_b32_e32 v41, 18, v195
	v_lshlrev_b32_e32 v47, 25, v195
	s_waitcnt vmcnt(11)
	v_and_b32_e32 v199, 0xf0f0f0f, v192
	v_and_b32_e32 v188, 0xf0f0f0f, v188
	v_lshlrev_b32_e32 v214, 4, v195
	v_lshlrev_b32_e32 v215, 11, v195
	v_and_b32_e32 v208, 16, v209
	v_and_b32_e32 v209, 0x1000, v210
	;; [unrolled: 1-line block ×8, first 2 shown]
	v_or3_b32 v188, v211, v188, v210
	v_or3_b32 v41, v47, v199, v41
	v_ashrrev_i32_e32 v173, v143, v173
	v_or3_b32 v187, v172, v205, v206
	v_or3_b32 v172, v188, v208, v209
	;; [unrolled: 1-line block ×3, first 2 shown]
	v_lshrrev_b32_e32 v41, 4, v192
	v_lshlrev_b32_e32 v188, 4, v173
	v_lshlrev_b32_e32 v192, 11, v173
	;; [unrolled: 1-line block ×4, first 2 shown]
	v_and_b32_e32 v41, 0xf0f0f0f, v41
	v_and_b32_e32 v195, 0x100000, v195
	;; [unrolled: 1-line block ×5, first 2 shown]
	v_or3_b32 v41, v173, v41, v195
	global_load_dword v195, v[34:35], off offset:132
	global_load_ushort v201, v[34:35], off offset:136
	v_or3_b32 v173, v41, v188, v192
	s_waitcnt vmcnt(11)
	v_perm_b32 v41, v45, v193, s48
	v_ashrrev_i32_e32 v188, v50, v41
	v_lshlrev_b32_e32 v192, 4, v188
	v_lshlrev_b32_e32 v199, 11, v188
	;; [unrolled: 1-line block ×4, first 2 shown]
	s_waitcnt vmcnt(10)
	v_and_b32_e32 v193, 0xf0f0f0f, v194
	v_and_b32_e32 v202, 0x100000, v202
	;; [unrolled: 1-line block ×5, first 2 shown]
	v_or3_b32 v188, v188, v193, v202
	v_ashrrev_i32_e32 v41, v143, v41
	v_or3_b32 v188, v188, v192, v199
	v_lshrrev_b32_e32 v192, 4, v194
	v_lshlrev_b32_e32 v193, 4, v41
	v_lshlrev_b32_e32 v194, 11, v41
	;; [unrolled: 1-line block ×4, first 2 shown]
	v_and_b32_e32 v192, 0xf0f0f0f, v192
	v_and_b32_e32 v199, 0x100000, v199
	;; [unrolled: 1-line block ×3, first 2 shown]
	v_or3_b32 v41, v41, v192, v199
	global_load_dword v199, v[34:35], off offset:154
	global_load_ushort v202, v[34:35], off offset:158
	v_and_b32_e32 v193, 16, v193
	v_and_b32_e32 v194, 0x1000, v194
	v_or3_b32 v34, v41, v193, v194
	s_waitcnt vmcnt(6)
	v_perm_b32 v41, v46, v213, s48
	v_ashrrev_i32_e32 v35, v50, v41
	v_lshlrev_b32_e32 v192, 4, v35
	v_lshlrev_b32_e32 v194, 11, v35
	v_lshlrev_b32_e32 v203, 18, v35
	v_lshlrev_b32_e32 v35, 25, v35
	v_and_b32_e32 v193, 0xf0f0f0f, v196
	v_and_b32_e32 v203, 0x100000, v203
	v_and_b32_e32 v35, 0x10000000, v35
	v_and_b32_e32 v192, 16, v192
	v_and_b32_e32 v194, 0x1000, v194
	v_or3_b32 v35, v35, v193, v203
	v_ashrrev_i32_e32 v41, v143, v41
	v_or3_b32 v35, v35, v192, v194
	v_lshrrev_b32_e32 v192, 4, v196
	v_lshlrev_b32_e32 v193, 4, v41
	v_lshlrev_b32_e32 v194, 11, v41
	v_lshlrev_b32_e32 v196, 18, v41
	v_lshlrev_b32_e32 v41, 25, v41
	v_and_b32_e32 v192, 0xf0f0f0f, v192
	v_and_b32_e32 v196, 0x100000, v196
	v_and_b32_e32 v41, 0x10000000, v41
	v_and_b32_e32 v193, 16, v193
	v_and_b32_e32 v194, 0x1000, v194
	v_or3_b32 v41, v41, v192, v196
	v_or3_b32 v192, v41, v193, v194
	s_waitcnt vmcnt(4)
	v_perm_b32 v41, v191, v204, s48
	v_ashrrev_i32_e32 v193, v50, v41
	v_lshlrev_b32_e32 v194, 4, v193
	v_lshlrev_b32_e32 v203, 11, v193
	v_lshlrev_b32_e32 v204, 18, v193
	v_lshlrev_b32_e32 v193, 25, v193
	v_and_b32_e32 v196, 0xf0f0f0f, v197
	v_and_b32_e32 v204, 0x100000, v204
	v_and_b32_e32 v193, 0x10000000, v193
	v_and_b32_e32 v194, 16, v194
	v_and_b32_e32 v203, 0x1000, v203
	v_or3_b32 v193, v193, v196, v204
	v_ashrrev_i32_e32 v41, v143, v41
	v_or3_b32 v193, v193, v194, v203
	v_lshrrev_b32_e32 v194, 4, v197
	v_lshlrev_b32_e32 v196, 4, v41
	v_lshlrev_b32_e32 v197, 11, v41
	v_lshlrev_b32_e32 v203, 18, v41
	v_lshlrev_b32_e32 v41, 25, v41
	v_and_b32_e32 v194, 0xf0f0f0f, v194
	v_and_b32_e32 v203, 0x100000, v203
	v_and_b32_e32 v41, 0x10000000, v41
	v_and_b32_e32 v196, 16, v196
	v_and_b32_e32 v197, 0x1000, v197
	v_or3_b32 v41, v41, v194, v203
	;; [unrolled: 27-line block ×3, first 2 shown]
	v_or3_b32 v197, v41, v198, v201
	s_waitcnt vmcnt(0)
	v_perm_b32 v41, v199, v202, s48
	v_ashrrev_i32_e32 v198, v50, v41
	v_lshlrev_b32_e32 v201, 4, v198
	v_lshlrev_b32_e32 v203, 11, v198
	;; [unrolled: 1-line block ×4, first 2 shown]
	v_and_b32_e32 v202, 0xf0f0f0f, v200
	v_and_b32_e32 v204, 0x100000, v204
	;; [unrolled: 1-line block ×5, first 2 shown]
	v_or3_b32 v198, v198, v202, v204
	v_ashrrev_i32_e32 v41, v143, v41
	v_or3_b32 v198, v198, v201, v203
	v_lshrrev_b32_e32 v200, 4, v200
	v_lshlrev_b32_e32 v201, 4, v41
	v_lshlrev_b32_e32 v202, 11, v41
	;; [unrolled: 1-line block ×4, first 2 shown]
	v_and_b32_e32 v200, 0xf0f0f0f, v200
	v_and_b32_e32 v203, 0x100000, v203
	;; [unrolled: 1-line block ×3, first 2 shown]
	v_or3_b32 v41, v41, v200, v203
	v_mov_b32_e32 v200, 0
	v_dot4c_i32_i8_e32 v200, v190, v52
	v_and_b32_e32 v201, 16, v201
	v_and_b32_e32 v202, 0x1000, v202
	s_nop 0
	v_cvt_f32_i32_e32 v203, v200
	v_mov_b32_e32 v200, 0
	v_dot4c_i32_i8_e32 v200, v189, v53
	s_nop 2
	v_cvt_f32_i32_e32 v204, v200
	v_or3_b32 v200, v41, v201, v202
	v_mov_b32_e32 v202, 0
	v_fma_f32 v41, v0, v203, -v149
	v_dot4c_i32_i8_e32 v202, v187, v54
	v_mov_b32_e32 v203, 0
	v_dot4c_i32_i8_e32 v203, v172, v55
	v_fma_mix_f32 v41, v41, v42, 0 op_sel_hi:[0,1,0]
	v_cvt_f32_i32_e32 v202, v202
	v_fma_f32 v201, v0, v204, -v149
	v_cvt_f32_i32_e32 v203, v203
	v_fma_mix_f32 v41, v201, v42, v41 op_sel_hi:[0,1,0]
	v_fma_f32 v201, v2, v202, -v151
	v_mov_b32_e32 v202, 0
	v_fma_mix_f32 v41, v201, v43, v41 op_sel_hi:[0,1,0]
	v_fma_f32 v201, v2, v203, -v151
	v_dot4c_i32_i8_e32 v202, v47, v56
	v_mov_b32_e32 v203, 0
	v_dot4c_i32_i8_e32 v203, v173, v57
	v_fma_mix_f32 v41, v201, v43, v41 op_sel_hi:[0,1,0]
	v_cvt_f32_i32_e32 v202, v202
	v_fma_f32 v201, v4, v202, -v153
	v_cvt_f32_i32_e32 v203, v203
	v_mov_b32_e32 v202, 0
	v_fma_mix_f32 v41, v201, v44, v41 op_sel_hi:[0,1,0]
	v_dot4c_i32_i8_e32 v202, v188, v58
	v_fma_f32 v201, v4, v203, -v153
	v_mov_b32_e32 v203, 0
	v_dot4c_i32_i8_e32 v203, v34, v59
	v_cvt_f32_i32_e32 v202, v202
	v_fma_mix_f32 v41, v201, v44, v41 op_sel_hi:[0,1,0]
	v_fma_f32 v201, v6, v202, -v155
	v_cvt_f32_i32_e32 v203, v203
	v_mov_b32_e32 v202, 0
	v_fma_mix_f32 v41, v201, v45, v41 op_sel_hi:[0,1,0]
	v_dot4c_i32_i8_e32 v202, v35, v60
	v_fma_f32 v201, v6, v203, -v155
	v_mov_b32_e32 v203, 0
	v_dot4c_i32_i8_e32 v203, v192, v61
	v_cvt_f32_i32_e32 v202, v202
	v_fma_mix_f32 v41, v201, v45, v41 op_sel_hi:[0,1,0]
	;; [unrolled: 10-line block ×5, first 2 shown]
	v_fma_f32 v201, v14, v202, -v163
	v_cvt_f32_i32_e32 v203, v203
	v_fma_mix_f32 v41, v201, v199, v41 op_sel_hi:[0,1,0]
	v_fma_f32 v201, v14, v203, -v163
	v_fma_mix_f32 v41, v201, v199, v41 op_sel_hi:[0,1,0]
	ds_bpermute_b32 v201, v145, v41
	s_waitcnt lgkmcnt(0)
	v_add_f32_e32 v41, v41, v201
	ds_bpermute_b32 v201, v147, v41
	s_waitcnt lgkmcnt(0)
	v_add_f32_e32 v41, v41, v201
	v_cmp_nlt_f32_e64 s[38:39], |v41|, s53
                                        ; implicit-def: $vgpr201
	s_and_saveexec_b64 s[58:59], s[38:39]
	s_xor_b64 s[38:39], exec, s[58:59]
	s_cbranch_execz .LBB31_48
; %bb.47:                               ;   in Loop: Header=BB31_22 Depth=1
	v_add_f32_e64 v201, |v41|, |v41|
	v_mul_f32_e32 v202, 0x3fb8aa3b, v201
	v_rndne_f32_e32 v203, v202
	v_sub_f32_e32 v204, v202, v203
	v_fma_f32 v202, v201, s54, -v202
	v_fmac_f32_e32 v202, 0x32a5705f, v201
	v_add_f32_e32 v202, v204, v202
	v_cvt_i32_f32_e32 v203, v203
	v_exp_f32_e32 v202, v202
	v_cmp_ngt_f32_e32 vcc, s55, v201
	v_ldexp_f32 v202, v202, v203
	v_cndmask_b32_e32 v202, 0, v202, vcc
	v_cmp_nlt_f32_e32 vcc, s56, v201
	v_cndmask_b32_e32 v201, v186, v202, vcc
	v_add_f32_e32 v201, 1.0, v201
	v_rcp_f32_e32 v201, v201
	v_fma_f32 v201, v201, -2.0, 1.0
.LBB31_48:                              ;   in Loop: Header=BB31_22 Depth=1
	s_andn2_saveexec_b64 s[38:39], s[38:39]
; %bb.49:                               ;   in Loop: Header=BB31_22 Depth=1
	v_mul_f32_e32 v201, v41, v41
	v_mov_b32_e32 v202, 0x3ca908c9
	v_fmac_f32_e32 v202, 0xbbbac73d, v201
	v_fma_f32 v202, v201, v202, v183
	v_fma_f32 v202, v201, v202, v184
	;; [unrolled: 1-line block ×3, first 2 shown]
	v_mul_f32_e64 v202, |v41|, v202
	v_fma_f32 v201, v201, v202, |v41|
; %bb.50:                               ;   in Loop: Header=BB31_22 Depth=1
	s_or_b64 exec, exec, s[38:39]
	v_bfi_b32 v41, s57, v201, v41
	s_and_b64 vcc, exec, s[16:17]
	v_mul_f32_e32 v41, s43, v41
	s_cbranch_vccnz .LBB31_52
; %bb.51:                               ;   in Loop: Header=BB31_22 Depth=1
	global_load_ushort v201, v38, s[36:37] offset:4
	s_waitcnt vmcnt(0)
	v_fma_mix_f32 v41, v139, v201, v41 op_sel_hi:[0,1,0]
.LBB31_52:                              ;   in Loop: Header=BB31_22 Depth=1
	v_mov_b32_e32 v201, 0
	v_dot4c_i32_i8_e32 v201, v190, v68
	v_cvt_f32_f16_e32 v42, v42
	v_cvt_f32_f16_e32 v43, v43
	;; [unrolled: 1-line block ×3, first 2 shown]
	v_cvt_f32_i32_e32 v190, v201
	v_mov_b32_e32 v201, 0
	v_dot4c_i32_i8_e32 v201, v189, v69
	v_cvt_f32_f16_e32 v45, v45
	v_fma_f32 v190, v16, v190, -v165
	v_fma_f32 v190, v190, v42, 0
	v_cvt_f32_i32_e32 v189, v201
	v_mov_b32_e32 v201, 0
	v_dot4c_i32_i8_e32 v201, v187, v70
	v_cvt_f32_f16_e32 v46, v46
	v_fma_f32 v189, v16, v189, -v165
	v_fmac_f32_e32 v190, v189, v42
	v_cvt_f32_i32_e32 v187, v201
	v_mov_b32_e32 v201, 0
	v_dot4c_i32_i8_e32 v201, v172, v71
	v_cvt_f32_f16_e32 v191, v191
	v_fma_f32 v42, v18, v187, -v167
	v_fmac_f32_e32 v190, v42, v43
	v_cvt_f32_i32_e32 v172, v201
	v_cvt_f32_f16_e32 v195, v195
	v_cvt_f32_f16_e32 v199, v199
	v_fma_f32 v42, v18, v172, -v167
	v_mov_b32_e32 v172, 0
	v_dot4c_i32_i8_e32 v172, v47, v72
	v_fmac_f32_e32 v190, v42, v43
	v_mov_b32_e32 v43, 0
	v_dot4c_i32_i8_e32 v43, v188, v74
	v_cvt_f32_i32_e32 v47, v172
	v_mov_b32_e32 v172, 0
	v_dot4c_i32_i8_e32 v172, v173, v73
	v_cvt_f32_i32_e32 v43, v43
	v_fma_f32 v42, v20, v47, -v169
	v_fmac_f32_e32 v190, v42, v44
	v_cvt_f32_i32_e32 v172, v172
	v_mov_b32_e32 v47, 0
	v_dot4c_i32_i8_e32 v47, v34, v75
	v_fma_f32 v42, v20, v172, -v169
	v_fmac_f32_e32 v190, v42, v44
	v_fma_f32 v42, v22, v43, -v174
	v_fmac_f32_e32 v190, v42, v45
	v_mov_b32_e32 v42, 0
	v_dot4c_i32_i8_e32 v42, v35, v76
	v_cvt_f32_i32_e32 v34, v47
	v_fma_f32 v34, v22, v34, -v174
	s_nop 0
	v_cvt_f32_i32_e32 v35, v42
	v_mov_b32_e32 v42, 0
	v_dot4c_i32_i8_e32 v42, v192, v77
	v_fmac_f32_e32 v190, v34, v45
	v_fma_f32 v34, v24, v35, -v175
	v_mov_b32_e32 v35, 0
	v_cvt_f32_i32_e32 v42, v42
	v_fmac_f32_e32 v190, v34, v46
	v_dot4c_i32_i8_e32 v35, v193, v78
	v_fma_f32 v34, v24, v42, -v175
	v_mov_b32_e32 v42, 0
	s_nop 0
	v_cvt_f32_i32_e32 v35, v35
	v_dot4c_i32_i8_e32 v42, v194, v79
	v_fmac_f32_e32 v190, v34, v46
	v_fma_f32 v34, v26, v35, -v176
	s_nop 0
	v_cvt_f32_i32_e32 v42, v42
	v_mov_b32_e32 v35, 0
	v_fmac_f32_e32 v190, v34, v191
	v_dot4c_i32_i8_e32 v35, v196, v80
	v_fma_f32 v34, v26, v42, -v176
	v_mov_b32_e32 v42, 0
	v_dot4c_i32_i8_e32 v42, v197, v81
	v_cvt_f32_i32_e32 v35, v35
	v_fmac_f32_e32 v190, v34, v191
	v_fma_f32 v34, v28, v35, -v177
	v_cvt_f32_i32_e32 v42, v42
	v_mov_b32_e32 v35, 0
	v_fmac_f32_e32 v190, v34, v195
	v_dot4c_i32_i8_e32 v35, v198, v82
	v_fma_f32 v34, v28, v42, -v177
	v_mov_b32_e32 v42, 0
	v_dot4c_i32_i8_e32 v42, v200, v83
	v_cvt_f32_i32_e32 v35, v35
	v_fmac_f32_e32 v190, v34, v195
	v_fma_f32 v34, v30, v35, -v178
	v_cvt_f32_i32_e32 v42, v42
	v_fmac_f32_e32 v190, v34, v199
	v_fma_f32 v34, v30, v42, -v178
	v_fmac_f32_e32 v190, v34, v199
	ds_bpermute_b32 v34, v145, v190
	s_waitcnt lgkmcnt(0)
	v_add_f32_e32 v34, v190, v34
	ds_bpermute_b32 v35, v147, v34
	s_waitcnt lgkmcnt(0)
	v_add_f32_e32 v34, v34, v35
	v_cmp_nlt_f32_e64 s[38:39], |v34|, s53
                                        ; implicit-def: $vgpr35
	s_and_saveexec_b64 s[58:59], s[38:39]
	s_xor_b64 s[38:39], exec, s[58:59]
	s_cbranch_execz .LBB31_54
; %bb.53:                               ;   in Loop: Header=BB31_22 Depth=1
	v_add_f32_e64 v35, |v34|, |v34|
	v_mul_f32_e32 v42, 0x3fb8aa3b, v35
	v_rndne_f32_e32 v43, v42
	v_sub_f32_e32 v44, v42, v43
	v_fma_f32 v42, v35, s54, -v42
	v_fmac_f32_e32 v42, 0x32a5705f, v35
	v_add_f32_e32 v42, v44, v42
	v_cvt_i32_f32_e32 v43, v43
	v_exp_f32_e32 v42, v42
	v_cmp_ngt_f32_e32 vcc, s55, v35
	v_ldexp_f32 v42, v42, v43
	v_cndmask_b32_e32 v42, 0, v42, vcc
	v_cmp_nlt_f32_e32 vcc, s56, v35
	v_cndmask_b32_e32 v35, v186, v42, vcc
	v_add_f32_e32 v35, 1.0, v35
	v_rcp_f32_e32 v35, v35
	v_fma_f32 v35, v35, -2.0, 1.0
.LBB31_54:                              ;   in Loop: Header=BB31_22 Depth=1
	s_andn2_saveexec_b64 s[38:39], s[38:39]
; %bb.55:                               ;   in Loop: Header=BB31_22 Depth=1
	v_mul_f32_e32 v35, v34, v34
	v_mov_b32_e32 v42, 0x3ca908c9
	v_fmac_f32_e32 v42, 0xbbbac73d, v35
	v_fma_f32 v42, v35, v42, v183
	v_fma_f32 v42, v35, v42, v184
	;; [unrolled: 1-line block ×3, first 2 shown]
	v_mul_f32_e64 v42, |v34|, v42
	v_fma_f32 v35, v35, v42, |v34|
; %bb.56:                               ;   in Loop: Header=BB31_22 Depth=1
	s_or_b64 exec, exec, s[38:39]
	v_bfi_b32 v34, s57, v35, v34
	s_and_b64 vcc, exec, s[18:19]
	v_mul_f32_e32 v42, s43, v34
	s_cbranch_vccnz .LBB31_58
; %bb.57:                               ;   in Loop: Header=BB31_22 Depth=1
	v_mov_b32_e32 v35, s37
	v_add_co_u32_e32 v34, vcc, s36, v94
	v_addc_co_u32_e32 v35, vcc, v35, v95, vcc
	global_load_ushort v34, v[34:35], off offset:4
	s_waitcnt vmcnt(0)
	v_fma_mix_f32 v42, v139, v34, v42 op_sel_hi:[0,1,0]
.LBB31_58:                              ;   in Loop: Header=BB31_22 Depth=1
	v_mov_b32_e32 v35, s49
	v_add_co_u32_e32 v34, vcc, s42, v102
	v_addc_co_u32_e32 v35, vcc, v35, v7, vcc
	global_load_dword v43, v[34:35], off
	global_load_ushort v47, v[34:35], off offset:4
	global_load_dword v44, v[34:35], off offset:22
	global_load_ushort v187, v[34:35], off offset:26
	global_load_dword v45, v[34:35], off offset:44
	global_load_ushort v188, v[34:35], off offset:48
	v_add_co_u32_e32 v172, vcc, v34, v50
	v_addc_co_u32_e32 v173, vcc, 0, v35, vcc
	global_load_dword v189, v[172:173], off offset:6
	global_load_dword v190, v[172:173], off offset:28
	global_load_dword v193, v[172:173], off offset:50
	global_load_dword v46, v[34:35], off offset:66
	global_load_ushort v194, v[34:35], off offset:70
	global_load_dword v195, v[172:173], off offset:72
	global_load_dword v197, v[172:173], off offset:94
	;; [unrolled: 1-line block ×5, first 2 shown]
	s_waitcnt vmcnt(14)
	v_perm_b32 v47, v43, v47, s48
	v_ashrrev_i32_e32 v173, v50, v47
	v_ashrrev_i32_e32 v47, v143, v47
	v_lshlrev_b32_e32 v205, 4, v47
	v_lshlrev_b32_e32 v206, 11, v47
	;; [unrolled: 1-line block ×4, first 2 shown]
	global_load_dword v47, v[34:35], off offset:88
	global_load_ushort v215, v[34:35], off offset:92
	s_waitcnt vmcnt(14)
	v_perm_b32 v172, v44, v187, s48
	v_ashrrev_i32_e32 v191, v50, v172
	s_waitcnt vmcnt(12)
	v_perm_b32 v187, v45, v188, s48
	s_waitcnt vmcnt(11)
	v_and_b32_e32 v188, 0xf0f0f0f, v189
	v_lshrrev_b32_e32 v189, 4, v189
	v_lshlrev_b32_e32 v202, 4, v173
	v_lshlrev_b32_e32 v203, 11, v173
	;; [unrolled: 1-line block ×8, first 2 shown]
	s_waitcnt vmcnt(10)
	v_and_b32_e32 v192, 0xf0f0f0f, v190
	v_ashrrev_i32_e32 v172, v143, v172
	v_and_b32_e32 v189, 0xf0f0f0f, v189
	v_and_b32_e32 v204, 0x100000, v204
	;; [unrolled: 1-line block ×7, first 2 shown]
	v_lshrrev_b32_e32 v190, 4, v190
	v_lshlrev_b32_e32 v212, 4, v172
	v_lshlrev_b32_e32 v213, 11, v172
	;; [unrolled: 1-line block ×4, first 2 shown]
	v_or3_b32 v173, v173, v188, v204
	v_or3_b32 v188, v208, v189, v207
	;; [unrolled: 1-line block ×3, first 2 shown]
	global_load_dword v192, v[34:35], off offset:110
	global_load_ushort v204, v[34:35], off offset:114
	v_and_b32_e32 v190, 0xf0f0f0f, v190
	v_and_b32_e32 v214, 0x100000, v214
	;; [unrolled: 1-line block ×3, first 2 shown]
	v_ashrrev_i32_e32 v196, v50, v187
	v_and_b32_e32 v202, 16, v202
	v_and_b32_e32 v203, 0x1000, v203
	;; [unrolled: 1-line block ×8, first 2 shown]
	v_or3_b32 v172, v172, v190, v214
	v_or3_b32 v191, v173, v202, v203
	;; [unrolled: 1-line block ×5, first 2 shown]
	v_lshlrev_b32_e32 v172, 18, v196
	v_lshlrev_b32_e32 v189, 25, v196
	s_waitcnt vmcnt(11)
	v_and_b32_e32 v200, 0xf0f0f0f, v193
	v_and_b32_e32 v172, 0x100000, v172
	;; [unrolled: 1-line block ×3, first 2 shown]
	v_ashrrev_i32_e32 v187, v143, v187
	v_lshlrev_b32_e32 v216, 4, v196
	v_lshlrev_b32_e32 v217, 11, v196
	v_or3_b32 v172, v189, v200, v172
	v_lshrrev_b32_e32 v189, 4, v193
	v_lshlrev_b32_e32 v193, 4, v187
	v_lshlrev_b32_e32 v196, 11, v187
	;; [unrolled: 1-line block ×4, first 2 shown]
	v_and_b32_e32 v189, 0xf0f0f0f, v189
	v_and_b32_e32 v200, 0x100000, v200
	;; [unrolled: 1-line block ×5, first 2 shown]
	v_or3_b32 v187, v187, v189, v200
	v_or3_b32 v187, v187, v193, v196
	global_load_dword v196, v[34:35], off offset:132
	global_load_ushort v202, v[34:35], off offset:136
	s_waitcnt vmcnt(11)
	v_perm_b32 v193, v46, v194, s48
	v_ashrrev_i32_e32 v189, v50, v193
	v_lshlrev_b32_e32 v194, 4, v189
	v_lshlrev_b32_e32 v203, 11, v189
	;; [unrolled: 1-line block ×4, first 2 shown]
	s_waitcnt vmcnt(10)
	v_and_b32_e32 v200, 0xf0f0f0f, v195
	v_and_b32_e32 v205, 0x100000, v205
	;; [unrolled: 1-line block ×3, first 2 shown]
	v_ashrrev_i32_e32 v193, v143, v193
	v_and_b32_e32 v194, 16, v194
	v_and_b32_e32 v203, 0x1000, v203
	v_or3_b32 v189, v189, v200, v205
	v_lshlrev_b32_e32 v200, 11, v193
	v_or3_b32 v189, v189, v194, v203
	v_lshrrev_b32_e32 v194, 4, v195
	v_lshlrev_b32_e32 v195, 4, v193
	v_and_b32_e32 v203, 0x1000, v200
	v_lshlrev_b32_e32 v200, 18, v193
	v_lshlrev_b32_e32 v193, 25, v193
	v_and_b32_e32 v194, 0xf0f0f0f, v194
	v_and_b32_e32 v200, 0x100000, v200
	;; [unrolled: 1-line block ×3, first 2 shown]
	v_or3_b32 v193, v193, v194, v200
	global_load_dword v200, v[34:35], off offset:154
	global_load_ushort v205, v[34:35], off offset:158
	v_and_b32_e32 v195, 16, v195
	v_or3_b32 v34, v193, v195, v203
	s_waitcnt vmcnt(6)
	v_perm_b32 v193, v47, v215, s48
	v_ashrrev_i32_e32 v35, v50, v193
	v_lshlrev_b32_e32 v194, 4, v35
	v_lshlrev_b32_e32 v203, 11, v35
	v_lshlrev_b32_e32 v206, 18, v35
	v_lshlrev_b32_e32 v35, 25, v35
	v_and_b32_e32 v195, 0xf0f0f0f, v197
	v_and_b32_e32 v206, 0x100000, v206
	v_and_b32_e32 v35, 0x10000000, v35
	v_and_b32_e32 v194, 16, v194
	v_and_b32_e32 v203, 0x1000, v203
	v_or3_b32 v35, v35, v195, v206
	v_ashrrev_i32_e32 v193, v143, v193
	v_or3_b32 v35, v35, v194, v203
	v_lshrrev_b32_e32 v194, 4, v197
	v_lshlrev_b32_e32 v195, 4, v193
	v_lshlrev_b32_e32 v197, 11, v193
	v_lshlrev_b32_e32 v203, 18, v193
	v_lshlrev_b32_e32 v193, 25, v193
	v_and_b32_e32 v194, 0xf0f0f0f, v194
	v_and_b32_e32 v203, 0x100000, v203
	v_and_b32_e32 v193, 0x10000000, v193
	v_and_b32_e32 v195, 16, v195
	v_and_b32_e32 v197, 0x1000, v197
	v_or3_b32 v193, v193, v194, v203
	v_or3_b32 v193, v193, v195, v197
	s_waitcnt vmcnt(4)
	v_perm_b32 v195, v192, v204, s48
	v_ashrrev_i32_e32 v194, v50, v195
	v_lshlrev_b32_e32 v197, 4, v194
	v_lshlrev_b32_e32 v204, 11, v194
	v_lshlrev_b32_e32 v206, 18, v194
	v_lshlrev_b32_e32 v194, 25, v194
	v_and_b32_e32 v203, 0xf0f0f0f, v198
	v_and_b32_e32 v206, 0x100000, v206
	v_and_b32_e32 v194, 0x10000000, v194
	v_and_b32_e32 v197, 16, v197
	v_and_b32_e32 v204, 0x1000, v204
	v_or3_b32 v194, v194, v203, v206
	v_ashrrev_i32_e32 v195, v143, v195
	v_or3_b32 v194, v194, v197, v204
	v_lshrrev_b32_e32 v197, 4, v198
	v_lshlrev_b32_e32 v198, 4, v195
	v_lshlrev_b32_e32 v203, 11, v195
	v_lshlrev_b32_e32 v204, 18, v195
	v_lshlrev_b32_e32 v195, 25, v195
	v_and_b32_e32 v197, 0xf0f0f0f, v197
	v_and_b32_e32 v204, 0x100000, v204
	v_and_b32_e32 v195, 0x10000000, v195
	v_and_b32_e32 v198, 16, v198
	v_and_b32_e32 v203, 0x1000, v203
	v_or3_b32 v195, v195, v197, v204
	;; [unrolled: 27-line block ×3, first 2 shown]
	v_or3_b32 v198, v198, v202, v203
	s_waitcnt vmcnt(0)
	v_perm_b32 v202, v200, v205, s48
	v_ashrrev_i32_e32 v199, v50, v202
	v_lshlrev_b32_e32 v203, 4, v199
	v_lshlrev_b32_e32 v205, 11, v199
	v_lshlrev_b32_e32 v206, 18, v199
	v_lshlrev_b32_e32 v199, 25, v199
	v_and_b32_e32 v204, 0xf0f0f0f, v201
	v_and_b32_e32 v206, 0x100000, v206
	;; [unrolled: 1-line block ×5, first 2 shown]
	v_or3_b32 v199, v199, v204, v206
	v_ashrrev_i32_e32 v202, v143, v202
	v_or3_b32 v199, v199, v203, v205
	v_lshrrev_b32_e32 v201, 4, v201
	v_lshlrev_b32_e32 v203, 4, v202
	v_lshlrev_b32_e32 v204, 11, v202
	;; [unrolled: 1-line block ×4, first 2 shown]
	v_and_b32_e32 v201, 0xf0f0f0f, v201
	v_and_b32_e32 v205, 0x100000, v205
	;; [unrolled: 1-line block ×3, first 2 shown]
	v_or3_b32 v201, v202, v201, v205
	v_mov_b32_e32 v205, 0
	v_dot4c_i32_i8_e32 v205, v190, v53
	v_mov_b32_e32 v202, 0
	v_and_b32_e32 v203, 16, v203
	v_and_b32_e32 v204, 0x1000, v204
	v_cvt_f32_i32_e32 v205, v205
	v_dot4c_i32_i8_e32 v202, v191, v52
	v_or3_b32 v201, v201, v203, v204
	v_mov_b32_e32 v204, 0
	v_fma_f32 v203, v0, v205, -v149
	v_cvt_f32_i32_e32 v202, v202
	v_dot4c_i32_i8_e32 v204, v188, v54
	v_mov_b32_e32 v205, 0
	v_dot4c_i32_i8_e32 v205, v173, v55
	v_fma_f32 v202, v0, v202, -v149
	v_cvt_f32_i32_e32 v204, v204
	v_and_b32_e32 v216, 16, v216
	v_cvt_f32_i32_e32 v205, v205
	v_and_b32_e32 v217, 0x1000, v217
	v_fma_mix_f32 v202, v202, v43, 0 op_sel_hi:[0,1,0]
	v_or3_b32 v172, v172, v216, v217
	v_fma_mix_f32 v202, v203, v43, v202 op_sel_hi:[0,1,0]
	v_fma_f32 v203, v2, v204, -v151
	v_mov_b32_e32 v204, 0
	v_fma_mix_f32 v202, v203, v44, v202 op_sel_hi:[0,1,0]
	v_fma_f32 v203, v2, v205, -v151
	v_dot4c_i32_i8_e32 v204, v172, v56
	v_mov_b32_e32 v205, 0
	v_dot4c_i32_i8_e32 v205, v187, v57
	v_fma_mix_f32 v202, v203, v44, v202 op_sel_hi:[0,1,0]
	v_cvt_f32_i32_e32 v204, v204
	v_fma_f32 v203, v4, v204, -v153
	v_cvt_f32_i32_e32 v205, v205
	v_mov_b32_e32 v204, 0
	v_fma_mix_f32 v202, v203, v45, v202 op_sel_hi:[0,1,0]
	v_dot4c_i32_i8_e32 v204, v189, v58
	v_fma_f32 v203, v4, v205, -v153
	v_mov_b32_e32 v205, 0
	v_dot4c_i32_i8_e32 v205, v34, v59
	v_cvt_f32_i32_e32 v204, v204
	v_fma_mix_f32 v202, v203, v45, v202 op_sel_hi:[0,1,0]
	v_fma_f32 v203, v6, v204, -v155
	v_cvt_f32_i32_e32 v205, v205
	v_mov_b32_e32 v204, 0
	v_fma_mix_f32 v202, v203, v46, v202 op_sel_hi:[0,1,0]
	v_dot4c_i32_i8_e32 v204, v35, v60
	v_fma_f32 v203, v6, v205, -v155
	v_mov_b32_e32 v205, 0
	v_dot4c_i32_i8_e32 v205, v193, v61
	v_cvt_f32_i32_e32 v204, v204
	v_fma_mix_f32 v202, v203, v46, v202 op_sel_hi:[0,1,0]
	;; [unrolled: 10-line block ×5, first 2 shown]
	v_fma_f32 v203, v14, v204, -v163
	v_cvt_f32_i32_e32 v205, v205
	v_fma_mix_f32 v202, v203, v200, v202 op_sel_hi:[0,1,0]
	v_fma_f32 v203, v14, v205, -v163
	v_fma_mix_f32 v202, v203, v200, v202 op_sel_hi:[0,1,0]
	ds_bpermute_b32 v203, v145, v202
	s_waitcnt lgkmcnt(0)
	v_add_f32_e32 v202, v202, v203
	ds_bpermute_b32 v203, v147, v202
	s_waitcnt lgkmcnt(0)
	v_add_f32_e32 v202, v202, v203
	v_cmp_nlt_f32_e64 s[38:39], |v202|, s53
                                        ; implicit-def: $vgpr203
	s_and_saveexec_b64 s[58:59], s[38:39]
	s_xor_b64 s[38:39], exec, s[58:59]
	s_cbranch_execz .LBB31_60
; %bb.59:                               ;   in Loop: Header=BB31_22 Depth=1
	v_add_f32_e64 v203, |v202|, |v202|
	v_mul_f32_e32 v204, 0x3fb8aa3b, v203
	v_rndne_f32_e32 v205, v204
	v_sub_f32_e32 v206, v204, v205
	v_fma_f32 v204, v203, s54, -v204
	v_fmac_f32_e32 v204, 0x32a5705f, v203
	v_add_f32_e32 v204, v206, v204
	v_cvt_i32_f32_e32 v205, v205
	v_exp_f32_e32 v204, v204
	v_cmp_ngt_f32_e32 vcc, s55, v203
	v_ldexp_f32 v204, v204, v205
	v_cndmask_b32_e32 v204, 0, v204, vcc
	v_cmp_nlt_f32_e32 vcc, s56, v203
	v_cndmask_b32_e32 v203, v186, v204, vcc
	v_add_f32_e32 v203, 1.0, v203
	v_rcp_f32_e32 v203, v203
	v_fma_f32 v203, v203, -2.0, 1.0
.LBB31_60:                              ;   in Loop: Header=BB31_22 Depth=1
	s_andn2_saveexec_b64 s[38:39], s[38:39]
; %bb.61:                               ;   in Loop: Header=BB31_22 Depth=1
	v_mul_f32_e32 v203, v202, v202
	v_mov_b32_e32 v204, 0x3ca908c9
	v_fmac_f32_e32 v204, 0xbbbac73d, v203
	v_fma_f32 v204, v203, v204, v183
	v_fma_f32 v204, v203, v204, v184
	;; [unrolled: 1-line block ×3, first 2 shown]
	v_mul_f32_e64 v204, |v202|, v204
	v_fma_f32 v203, v203, v204, |v202|
; %bb.62:                               ;   in Loop: Header=BB31_22 Depth=1
	s_or_b64 exec, exec, s[38:39]
	v_bfi_b32 v202, s57, v203, v202
	s_and_b64 vcc, exec, s[16:17]
	v_mul_f32_e32 v202, s43, v202
	s_cbranch_vccnz .LBB31_64
; %bb.63:                               ;   in Loop: Header=BB31_22 Depth=1
	global_load_ushort v38, v38, s[36:37] offset:6
	s_waitcnt vmcnt(0)
	v_fma_mix_f32 v202, v139, v38, v202 op_sel_hi:[0,1,0]
.LBB31_64:                              ;   in Loop: Header=BB31_22 Depth=1
	v_cvt_f32_f16_e32 v38, v43
	v_cvt_f32_f16_e32 v43, v44
	;; [unrolled: 1-line block ×7, first 2 shown]
	v_mov_b32_e32 v196, 0
	v_dot4c_i32_i8_e32 v196, v191, v68
	s_nop 2
	v_cvt_f32_i32_e32 v191, v196
	v_mov_b32_e32 v196, 0
	v_dot4c_i32_i8_e32 v196, v190, v69
	v_fma_f32 v191, v16, v191, -v165
	v_fma_f32 v191, v191, v38, 0
	s_nop 0
	v_cvt_f32_i32_e32 v190, v196
	v_cvt_f32_f16_e32 v196, v200
	v_mov_b32_e32 v200, 0
	v_dot4c_i32_i8_e32 v200, v188, v70
	v_fma_f32 v190, v16, v190, -v165
	v_fmac_f32_e32 v191, v190, v38
	s_nop 0
	v_cvt_f32_i32_e32 v188, v200
	v_mov_b32_e32 v200, 0
	v_dot4c_i32_i8_e32 v200, v173, v71
	v_fma_f32 v38, v18, v188, -v167
	v_fmac_f32_e32 v191, v38, v43
	s_nop 0
	v_cvt_f32_i32_e32 v173, v200
	v_fma_f32 v38, v18, v173, -v167
	v_mov_b32_e32 v173, 0
	v_dot4c_i32_i8_e32 v173, v172, v72
	v_fmac_f32_e32 v191, v38, v43
	v_mov_b32_e32 v43, 0
	v_dot4c_i32_i8_e32 v43, v189, v74
	v_cvt_f32_i32_e32 v172, v173
	v_mov_b32_e32 v173, 0
	v_dot4c_i32_i8_e32 v173, v187, v73
	v_cvt_f32_i32_e32 v43, v43
	v_fma_f32 v38, v20, v172, -v169
	v_fmac_f32_e32 v191, v38, v44
	v_cvt_f32_i32_e32 v173, v173
	v_mov_b32_e32 v172, 0
	v_dot4c_i32_i8_e32 v172, v34, v75
	v_fma_f32 v38, v20, v173, -v169
	v_fmac_f32_e32 v191, v38, v44
	v_fma_f32 v38, v22, v43, -v174
	v_fmac_f32_e32 v191, v38, v45
	v_mov_b32_e32 v38, 0
	v_dot4c_i32_i8_e32 v38, v35, v76
	v_cvt_f32_i32_e32 v34, v172
	v_fma_f32 v34, v22, v34, -v174
	s_nop 0
	v_cvt_f32_i32_e32 v35, v38
	v_mov_b32_e32 v38, 0
	v_dot4c_i32_i8_e32 v38, v193, v77
	v_fmac_f32_e32 v191, v34, v45
	v_fma_f32 v34, v24, v35, -v175
	v_mov_b32_e32 v35, 0
	v_cvt_f32_i32_e32 v38, v38
	v_fmac_f32_e32 v191, v34, v46
	v_dot4c_i32_i8_e32 v35, v194, v78
	v_fma_f32 v34, v24, v38, -v175
	v_mov_b32_e32 v38, 0
	s_nop 0
	v_cvt_f32_i32_e32 v35, v35
	v_dot4c_i32_i8_e32 v38, v195, v79
	v_fmac_f32_e32 v191, v34, v46
	v_fma_f32 v34, v26, v35, -v176
	s_nop 0
	v_cvt_f32_i32_e32 v38, v38
	v_mov_b32_e32 v35, 0
	v_fmac_f32_e32 v191, v34, v47
	v_dot4c_i32_i8_e32 v35, v197, v80
	v_fma_f32 v34, v26, v38, -v176
	v_mov_b32_e32 v38, 0
	v_dot4c_i32_i8_e32 v38, v198, v81
	v_cvt_f32_i32_e32 v35, v35
	v_fmac_f32_e32 v191, v34, v47
	v_fma_f32 v34, v28, v35, -v177
	v_cvt_f32_i32_e32 v38, v38
	v_mov_b32_e32 v35, 0
	v_fmac_f32_e32 v191, v34, v192
	v_dot4c_i32_i8_e32 v35, v199, v82
	v_fma_f32 v34, v28, v38, -v177
	v_mov_b32_e32 v38, 0
	v_dot4c_i32_i8_e32 v38, v201, v83
	v_cvt_f32_i32_e32 v35, v35
	v_fmac_f32_e32 v191, v34, v192
	v_fma_f32 v34, v30, v35, -v178
	v_cvt_f32_i32_e32 v38, v38
	v_fmac_f32_e32 v191, v34, v196
	v_fma_f32 v34, v30, v38, -v178
	v_fmac_f32_e32 v191, v34, v196
	ds_bpermute_b32 v34, v145, v191
	s_waitcnt lgkmcnt(0)
	v_add_f32_e32 v34, v191, v34
	ds_bpermute_b32 v35, v147, v34
	s_waitcnt lgkmcnt(0)
	v_add_f32_e32 v34, v34, v35
	v_cmp_nlt_f32_e64 s[16:17], |v34|, s53
                                        ; implicit-def: $vgpr35
	s_and_saveexec_b64 s[38:39], s[16:17]
	s_xor_b64 s[16:17], exec, s[38:39]
	s_cbranch_execz .LBB31_66
; %bb.65:                               ;   in Loop: Header=BB31_22 Depth=1
	v_add_f32_e64 v35, |v34|, |v34|
	v_mul_f32_e32 v38, 0x3fb8aa3b, v35
	v_rndne_f32_e32 v43, v38
	v_sub_f32_e32 v44, v38, v43
	v_fma_f32 v38, v35, s54, -v38
	v_fmac_f32_e32 v38, 0x32a5705f, v35
	v_add_f32_e32 v38, v44, v38
	v_cvt_i32_f32_e32 v43, v43
	v_exp_f32_e32 v38, v38
	v_cmp_ngt_f32_e32 vcc, s55, v35
	v_ldexp_f32 v38, v38, v43
	v_cndmask_b32_e32 v38, 0, v38, vcc
	v_cmp_nlt_f32_e32 vcc, s56, v35
	v_cndmask_b32_e32 v35, v186, v38, vcc
	v_add_f32_e32 v35, 1.0, v35
	v_rcp_f32_e32 v35, v35
	v_fma_f32 v35, v35, -2.0, 1.0
.LBB31_66:                              ;   in Loop: Header=BB31_22 Depth=1
	s_andn2_saveexec_b64 s[16:17], s[16:17]
; %bb.67:                               ;   in Loop: Header=BB31_22 Depth=1
	v_mul_f32_e32 v35, v34, v34
	v_mov_b32_e32 v38, 0x3ca908c9
	v_fmac_f32_e32 v38, 0xbbbac73d, v35
	v_fma_f32 v38, v35, v38, v183
	v_fma_f32 v38, v35, v38, v184
	;; [unrolled: 1-line block ×3, first 2 shown]
	v_mul_f32_e64 v38, |v34|, v38
	v_fma_f32 v35, v35, v38, |v34|
; %bb.68:                               ;   in Loop: Header=BB31_22 Depth=1
	s_or_b64 exec, exec, s[16:17]
	v_bfi_b32 v34, s57, v35, v34
	s_and_b64 vcc, exec, s[18:19]
	v_mul_f32_e32 v34, s43, v34
	s_cbranch_vccnz .LBB31_21
; %bb.69:                               ;   in Loop: Header=BB31_22 Depth=1
	v_mov_b32_e32 v35, s37
	v_add_co_u32_e32 v44, vcc, s36, v94
	v_addc_co_u32_e32 v45, vcc, v35, v95, vcc
	global_load_ushort v35, v[44:45], off offset:6
	s_waitcnt vmcnt(0)
	v_fma_mix_f32 v34, v139, v35, v34 op_sel_hi:[0,1,0]
	s_branch .LBB31_21
.LBB31_70:
	s_cmp_eq_u64 s[24:25], 0
	s_cselect_b64 s[10:11], -1, 0
	s_cmp_lg_u32 s9, 0
	s_cselect_b64 s[12:13], -1, 0
	s_or_b64 s[10:11], s[12:13], s[10:11]
	s_or_b64 s[6:7], s[6:7], s[10:11]
	s_xor_b64 s[6:7], s[6:7], -1
	s_and_saveexec_b64 s[12:13], s[6:7]
	s_cbranch_execz .LBB31_72
; %bb.71:
	v_mov_b32_e32 v0, 0
	v_lshl_add_u32 v0, v129, 4, v0
	buffer_load_dword v1, v0, s[0:3], 0 offen
	buffer_load_dword v2, v0, s[0:3], 0 offen offset:4
	buffer_load_dword v3, v0, s[0:3], 0 offen offset:8
	;; [unrolled: 1-line block ×3, first 2 shown]
	s_ashr_i32 s41, s40, 31
	s_lshl_b64 s[6:7], s[40:41], 2
	s_add_u32 s6, s24, s6
	s_addc_u32 s7, s25, s7
	s_load_dword s6, s[6:7], 0x0
	v_cmp_eq_u32_e32 vcc, 1, v129
	v_cndmask_b32_e32 v5, v172, v173, vcc
	v_max_f32_e32 v7, v5, v5
	s_mov_b32 s8, 0x3fb8aa3b
	s_waitcnt lgkmcnt(0)
	v_max_f32_e64 v9, s6, s6
	v_max_f32_e32 v7, v9, v7
	v_sub_f32_e32 v5, v5, v7
	v_sub_f32_e32 v9, s6, v7
	v_mul_f32_e32 v10, 0x3fb8aa3b, v5
	v_mul_f32_e32 v11, 0x3fb8aa3b, v9
	v_fma_f32 v12, v5, s8, -v10
	v_rndne_f32_e32 v13, v10
	v_fma_f32 v14, v9, s8, -v11
	v_rndne_f32_e32 v15, v11
	v_fmac_f32_e32 v12, 0x32a5705f, v5
	v_sub_f32_e32 v10, v10, v13
	v_fmac_f32_e32 v14, 0x32a5705f, v9
	v_sub_f32_e32 v11, v11, v15
	v_add_f32_e32 v10, v10, v12
	v_cvt_i32_f32_e32 v13, v13
	v_add_f32_e32 v11, v11, v14
	v_exp_f32_e32 v10, v10
	v_cvt_i32_f32_e32 v15, v15
	v_exp_f32_e32 v11, v11
	s_mov_b32 s14, 0xc2ce8ed0
	v_cmp_eq_u32_e64 s[6:7], 0, v129
	v_cndmask_b32_e32 v173, v173, v7, vcc
	v_cndmask_b32_e64 v172, v172, v7, s[6:7]
	v_ldexp_f32 v7, v10, v13
	v_cmp_ngt_f32_e64 s[10:11], s14, v5
	s_mov_b32 s15, 0x42b17218
	v_ldexp_f32 v10, v11, v15
	v_cndmask_b32_e64 v7, 0, v7, s[10:11]
	v_cmp_ngt_f32_e64 s[10:11], s14, v9
	v_mov_b32_e32 v6, 0x7f800000
	v_cndmask_b32_e64 v10, 0, v10, s[10:11]
	v_cmp_nlt_f32_e64 s[10:11], s15, v5
	v_cndmask_b32_e64 v5, v6, v7, s[10:11]
	v_cmp_nlt_f32_e64 s[10:11], s15, v9
	v_cvt_f16_f32_e32 v7, v5
	v_cndmask_b32_e64 v6, v6, v10, s[10:11]
	v_cmp_eq_u32_e64 s[10:11], 0, v127
	v_cndmask_b32_e32 v8, v48, v49, vcc
	v_cndmask_b32_e64 v6, 0, v6, s[10:11]
	v_fmac_f32_e32 v6, v8, v5
	v_cndmask_b32_e32 v49, v49, v6, vcc
	v_cndmask_b32_e64 v48, v48, v6, s[6:7]
	s_waitcnt vmcnt(3)
	v_pk_mul_f16 v1, v7, v1 op_sel_hi:[0,1]
	s_waitcnt vmcnt(2)
	v_pk_mul_f16 v2, v7, v2 op_sel_hi:[0,1]
	;; [unrolled: 2-line block ×4, first 2 shown]
	buffer_store_dword v1, v0, s[0:3], 0 offen
	buffer_store_dword v2, v0, s[0:3], 0 offen offset:4
	buffer_store_dword v3, v0, s[0:3], 0 offen offset:8
	;; [unrolled: 1-line block ×3, first 2 shown]
.LBB31_72:
	s_or_b64 exec, exec, s[12:13]
	v_cmp_eq_u32_e32 vcc, 0, v129
	s_and_saveexec_b64 s[6:7], vcc
	s_cbranch_execz .LBB31_74
; %bb.73:
	v_mov_b32_e32 v0, 0xfeffffff
	v_add_u32_e32 v2, 0x800, v137
	v_mov_b32_e32 v1, 0
	ds_write2_b32 v2, v0, v0 offset1:32
	ds_write2_b32 v2, v1, v1 offset0:64 offset1:96
.LBB31_74:
	s_or_b64 exec, exec, s[6:7]
	v_cmp_eq_u32_e64 s[6:7], 0, v127
	s_waitcnt lgkmcnt(0)
	s_barrier
	s_and_saveexec_b64 s[10:11], s[6:7]
	s_cbranch_execz .LBB31_76
; %bb.75:
	v_lshlrev_b32_e32 v0, 2, v129
	v_add_u32_e32 v0, 0x800, v0
	ds_write2_b32 v0, v172, v173 offset1:32
.LBB31_76:
	s_or_b64 exec, exec, s[10:11]
	s_cmp_lt_i32 s33, s34
	s_waitcnt lgkmcnt(0)
	s_barrier
	s_cbranch_scc1 .LBB31_78
; %bb.77:
	s_load_dword s12, s[4:5], 0xd4
	s_mul_i32 s8, s50, s34
	s_cbranch_execz .LBB31_79
	s_branch .LBB31_86
.LBB31_78:
                                        ; implicit-def: $sgpr12
	s_mul_i32 s8, s50, s34
.LBB31_79:
	v_mbcnt_hi_u32_b32 v0, -1, v141
	v_and_b32_e32 v1, 0x60, v0
	ds_read_b32 v4, v137 offset:2048
	v_add_u32_e32 v1, 32, v1
	v_xor_b32_e32 v2, 16, v0
	buffer_load_dword v9, off, s[0:3], 0
	buffer_load_dword v11, off, s[0:3], 0 offset:4
	buffer_load_dword v12, off, s[0:3], 0 offset:8
	;; [unrolled: 1-line block ×3, first 2 shown]
	v_cmp_lt_i32_e32 vcc, v2, v1
	v_cndmask_b32_e32 v2, v0, v2, vcc
	v_lshlrev_b32_e32 v2, 2, v2
	s_waitcnt lgkmcnt(0)
	ds_bpermute_b32 v5, v2, v4
	v_xor_b32_e32 v3, 8, v0
	v_cmp_lt_i32_e32 vcc, v3, v1
	v_cndmask_b32_e32 v3, v0, v3, vcc
	v_max_f32_e32 v4, v4, v4
	s_waitcnt lgkmcnt(0)
	v_max_f32_e32 v5, v5, v5
	v_lshlrev_b32_e32 v3, 2, v3
	v_max_f32_e32 v5, v4, v5
	ds_bpermute_b32 v7, v3, v5
	v_xor_b32_e32 v6, 4, v0
	v_cmp_lt_i32_e32 vcc, v6, v1
	v_cndmask_b32_e32 v4, v0, v6, vcc
	v_lshlrev_b32_e32 v4, 2, v4
	s_waitcnt lgkmcnt(0)
	v_max_f32_e32 v6, v7, v7
	v_max_f32_e32 v6, v5, v6
	ds_bpermute_b32 v7, v4, v6
	v_xor_b32_e32 v5, 2, v0
	v_cmp_lt_i32_e32 vcc, v5, v1
	v_cndmask_b32_e32 v5, v0, v5, vcc
	v_lshlrev_b32_e32 v5, 2, v5
	s_waitcnt lgkmcnt(0)
	v_max_f32_e32 v7, v7, v7
	;; [unrolled: 8-line block ×3, first 2 shown]
	v_max_f32_e32 v0, v7, v0
	ds_bpermute_b32 v1, v6, v0
	s_mov_b32 s10, 0x3fb8aa3b
	s_load_dword s12, s[4:5], 0xd4
	s_waitcnt lgkmcnt(0)
	v_max_f32_e32 v1, v1, v1
	v_max_f32_e32 v0, v0, v1
	v_sub_f32_e32 v1, v172, v0
	v_mul_f32_e32 v7, 0x3fb8aa3b, v1
	v_fma_f32 v8, v1, s10, -v7
	v_rndne_f32_e32 v10, v7
	v_fmac_f32_e32 v8, 0x32a5705f, v1
	v_sub_f32_e32 v7, v7, v10
	v_add_f32_e32 v7, v7, v8
	v_exp_f32_e32 v7, v7
	v_cvt_i32_f32_e32 v8, v10
	s_mov_b32 s10, 0xc2ce8ed0
	v_cmp_ngt_f32_e32 vcc, s10, v1
	s_mov_b32 s10, 0x42b17218
	v_ldexp_f32 v7, v7, v8
	v_cndmask_b32_e32 v7, 0, v7, vcc
	v_mov_b32_e32 v8, 0x7f800000
	v_cmp_nlt_f32_e32 vcc, s10, v1
	v_cndmask_b32_e32 v1, v8, v7, vcc
	v_mul_f32_e32 v7, v48, v1
	ds_bpermute_b32 v7, v2, v7
	v_cvt_f16_f32_e32 v14, v1
	s_waitcnt lgkmcnt(0)
	v_fmac_f32_e32 v7, v48, v1
	ds_bpermute_b32 v8, v3, v7
	s_waitcnt lgkmcnt(0)
	v_add_f32_e32 v7, v7, v8
	ds_bpermute_b32 v8, v4, v7
	s_waitcnt lgkmcnt(0)
	v_add_f32_e32 v8, v7, v8
	ds_bpermute_b32 v10, v5, v8
	v_lshlrev_b32_e32 v7, 3, v127
	v_add_u32_e32 v7, v131, v7
	s_waitcnt vmcnt(2)
	v_pk_mul_f16 v11, v14, v11 op_sel_hi:[0,1]
	s_waitcnt vmcnt(1)
	v_pk_mul_f16 v12, v14, v12 op_sel_hi:[0,1]
	s_waitcnt lgkmcnt(0)
	v_add_f32_e32 v1, v8, v10
	ds_bpermute_b32 v8, v6, v1
	v_pk_mul_f16 v10, v14, v9 op_sel_hi:[0,1]
	s_waitcnt vmcnt(0)
	v_pk_mul_f16 v13, v14, v13 op_sel_hi:[0,1]
	buffer_store_dword v10, off, s[0:3], 0
	buffer_store_dword v11, off, s[0:3], 0 offset:4
	buffer_store_dword v12, off, s[0:3], 0 offset:8
	;; [unrolled: 1-line block ×3, first 2 shown]
	ds_write2_b64 v7, v[10:11], v[12:13] offset1:32
	s_and_saveexec_b64 s[4:5], s[6:7]
	s_cbranch_execz .LBB31_81
; %bb.80:
	s_waitcnt lgkmcnt(1)
	v_add_f32_e32 v1, v1, v8
	v_lshlrev_b32_e32 v8, 2, v129
	ds_write_b32 v8, v1 offset:2304
.LBB31_81:
	s_or_b64 exec, exec, s[4:5]
	s_waitcnt lgkmcnt(0)
	s_barrier
	ds_read_b32 v1, v137 offset:2304
	ds_read_u16 v8, v135
	ds_read_u16 v10, v135 offset:1280
	ds_read_u16 v11, v135 offset:768
	;; [unrolled: 1-line block ×3, first 2 shown]
	s_waitcnt lgkmcnt(4)
	ds_bpermute_b32 v9, v2, v1
	ds_read_u16 v13, v135 offset:512
	ds_read_u16 v14, v135 offset:1024
	;; [unrolled: 1-line block ×3, first 2 shown]
	s_waitcnt lgkmcnt(7)
	v_cvt_f32_f16_e32 v8, v8
	s_waitcnt lgkmcnt(5)
	v_cvt_f32_f16_e32 v11, v11
	;; [unrolled: 2-line block ×3, first 2 shown]
	v_add_f32_e32 v1, v1, v9
	ds_bpermute_b32 v9, v3, v1
	s_waitcnt lgkmcnt(2)
	v_cvt_f32_f16_e32 v14, v14
	s_waitcnt lgkmcnt(1)
	v_cvt_f32_f16_e32 v15, v15
	v_add_f32_e32 v8, 0, v8
	v_add_f32_e32 v8, v8, v13
	s_waitcnt lgkmcnt(0)
	v_add_f32_e32 v1, v1, v9
	ds_bpermute_b32 v9, v4, v1
	v_add_f32_e32 v8, v8, v14
	v_add_f32_e32 v8, v8, v15
	v_cvt_f32_f16_e32 v12, v12
	s_cmp_eq_u32 s12, 1
	s_waitcnt lgkmcnt(0)
	v_add_f32_e32 v1, v1, v9
	ds_bpermute_b32 v9, v5, v1
	v_cvt_f32_f16_e32 v10, v10
	v_add_f32_e32 v12, 0, v12
	v_add_f32_e32 v11, v12, v11
	s_waitcnt lgkmcnt(0)
	v_add_f32_e32 v1, v1, v9
	ds_bpermute_b32 v9, v6, v1
	v_add_f32_e32 v10, v11, v10
	s_waitcnt lgkmcnt(0)
	v_add_f32_e32 v48, v1, v9
	v_div_scale_f32 v9, s[4:5], v48, v48, v8
	v_rcp_f32_e32 v13, v9
	v_div_scale_f32 v14, vcc, v8, v48, v8
	s_cselect_b64 s[4:5], -1, 0
	v_fma_f32 v15, -v9, v13, 1.0
	v_fmac_f32_e32 v13, v15, v13
	v_mul_f32_e32 v15, v14, v13
	v_fma_f32 v16, -v9, v15, v14
	v_fmac_f32_e32 v15, v16, v13
	v_fma_f32 v9, -v9, v15, v14
	ds_read_u16 v14, v135 offset:1792
	s_add_i32 s10, s8, s33
	s_mul_i32 s13, s10, s35
	s_add_i32 s13, s13, s40
	v_div_fmas_f32 v9, v9, v13, v15
	s_waitcnt lgkmcnt(0)
	v_cvt_f32_f16_e32 v14, v14
	s_mul_i32 s10, s12, s13
	v_div_fixup_f32 v9, v9, v48, v8
	s_add_i32 s10, s10, s9
	v_add_f32_e32 v10, v10, v14
	v_cndmask_b32_e64 v13, v8, v9, s[4:5]
	v_lshl_or_b32 v8, s10, 8, v133
	v_div_scale_f32 v11, s[10:11], v48, v48, v10
	v_mov_b32_e32 v9, 0
	v_rcp_f32_e32 v12, v11
	v_lshlrev_b64 v[8:9], 2, v[8:9]
	v_mov_b32_e32 v15, s29
	v_add_co_u32_e32 v8, vcc, s28, v8
	v_addc_co_u32_e32 v9, vcc, v15, v9, vcc
	global_store_dword v[8:9], v13, off
	v_fma_f32 v13, -v11, v12, 1.0
	v_fmac_f32_e32 v12, v13, v12
	v_div_scale_f32 v13, vcc, v10, v48, v10
	v_mul_f32_e32 v14, v13, v12
	v_fma_f32 v15, -v11, v14, v13
	v_fmac_f32_e32 v14, v15, v12
	v_fma_f32 v11, -v11, v14, v13
	v_div_fmas_f32 v11, v11, v12, v14
	v_div_fixup_f32 v11, v11, v48, v10
	s_or_b32 s10, s33, 1
	v_mov_b32_e32 v1, v173
	v_cndmask_b32_e64 v10, v10, v11, s[4:5]
	s_cmp_ge_i32 s10, s34
	global_store_dword v[8:9], v10, off offset:512
	s_barrier
	s_cbranch_scc1 .LBB31_85
; %bb.82:
	v_add_u32_e32 v1, 0x800, v137
	ds_read_b32 v1, v1 offset:128
	buffer_load_dword v11, off, s[0:3], 0 offset:16
	buffer_load_dword v13, off, s[0:3], 0 offset:20
	;; [unrolled: 1-line block ×4, first 2 shown]
	s_mov_b32 s10, 0x3fb8aa3b
	s_mov_b32 s11, 0x42b17218
	s_waitcnt lgkmcnt(0)
	ds_bpermute_b32 v8, v2, v1
	v_max_f32_e32 v1, v1, v1
	s_waitcnt lgkmcnt(0)
	v_max_f32_e32 v8, v8, v8
	v_max_f32_e32 v1, v1, v8
	ds_bpermute_b32 v8, v3, v1
	s_waitcnt lgkmcnt(0)
	v_max_f32_e32 v8, v8, v8
	v_max_f32_e32 v1, v1, v8
	ds_bpermute_b32 v8, v4, v1
	s_waitcnt lgkmcnt(0)
	v_max_f32_e32 v8, v8, v8
	v_max_f32_e32 v1, v1, v8
	ds_bpermute_b32 v8, v5, v1
	s_waitcnt lgkmcnt(0)
	v_max_f32_e32 v8, v8, v8
	v_max_f32_e32 v1, v1, v8
	ds_bpermute_b32 v8, v6, v1
	s_waitcnt lgkmcnt(0)
	v_max_f32_e32 v8, v8, v8
	v_max_f32_e32 v1, v1, v8
	v_sub_f32_e32 v8, v173, v1
	v_mul_f32_e32 v9, 0x3fb8aa3b, v8
	v_fma_f32 v10, v8, s10, -v9
	v_rndne_f32_e32 v12, v9
	v_fmac_f32_e32 v10, 0x32a5705f, v8
	v_sub_f32_e32 v9, v9, v12
	v_add_f32_e32 v9, v9, v10
	v_cvt_i32_f32_e32 v12, v12
	v_exp_f32_e32 v9, v9
	s_mov_b32 s10, 0xc2ce8ed0
	v_cmp_ngt_f32_e32 vcc, s10, v8
	v_mov_b32_e32 v10, 0x7f800000
	v_ldexp_f32 v9, v9, v12
	v_cndmask_b32_e32 v9, 0, v9, vcc
	v_cmp_nlt_f32_e32 vcc, s11, v8
	v_cndmask_b32_e32 v8, v10, v9, vcc
	v_mul_f32_e32 v9, v49, v8
	ds_bpermute_b32 v9, v2, v9
	v_cvt_f16_f32_e32 v16, v8
	s_waitcnt lgkmcnt(0)
	v_fmac_f32_e32 v9, v49, v8
	ds_bpermute_b32 v10, v3, v9
	v_add_u32_e32 v8, 0x900, v137
	s_waitcnt lgkmcnt(0)
	v_add_f32_e32 v9, v9, v10
	ds_bpermute_b32 v10, v4, v9
	s_waitcnt lgkmcnt(0)
	v_add_f32_e32 v9, v9, v10
	ds_bpermute_b32 v10, v5, v9
	s_waitcnt vmcnt(3)
	v_pk_mul_f16 v12, v16, v11 op_sel_hi:[0,1]
	s_waitcnt vmcnt(2)
	v_pk_mul_f16 v13, v16, v13 op_sel_hi:[0,1]
	s_waitcnt lgkmcnt(0)
	v_add_f32_e32 v9, v9, v10
	ds_bpermute_b32 v10, v6, v9
	s_waitcnt vmcnt(1)
	v_pk_mul_f16 v14, v16, v14 op_sel_hi:[0,1]
	s_waitcnt vmcnt(0)
	v_pk_mul_f16 v15, v16, v15 op_sel_hi:[0,1]
	buffer_store_dword v12, off, s[0:3], 0 offset:16
	buffer_store_dword v13, off, s[0:3], 0 offset:20
	;; [unrolled: 1-line block ×4, first 2 shown]
	ds_write2_b64 v7, v[12:13], v[14:15] offset1:32
	s_and_saveexec_b64 s[10:11], s[6:7]
	s_cbranch_execz .LBB31_84
; %bb.83:
	v_lshlrev_b32_e32 v7, 2, v129
	s_waitcnt lgkmcnt(1)
	v_add_f32_e32 v9, v9, v10
	ds_write_b32 v7, v9 offset:2432
.LBB31_84:
	s_or_b64 exec, exec, s[10:11]
	s_waitcnt lgkmcnt(0)
	s_barrier
	ds_read_b32 v7, v8 offset:128
	ds_read_u16 v8, v135
	ds_read_u16 v9, v135 offset:1280
	ds_read_u16 v10, v135 offset:768
	;; [unrolled: 1-line block ×3, first 2 shown]
	s_waitcnt lgkmcnt(4)
	ds_bpermute_b32 v2, v2, v7
	ds_read_u16 v12, v135 offset:512
	ds_read_u16 v13, v135 offset:1024
	;; [unrolled: 1-line block ×3, first 2 shown]
	s_add_i32 s13, s13, s35
	s_mul_i32 s6, s12, s13
	s_waitcnt lgkmcnt(3)
	v_add_f32_e32 v2, v7, v2
	ds_bpermute_b32 v7, v3, v2
	s_add_i32 s6, s6, s9
	v_mov_b32_e32 v3, 0
	v_mov_b32_e32 v15, s29
	v_cvt_f32_f16_e32 v9, v9
	s_waitcnt lgkmcnt(0)
	v_add_f32_e32 v7, v2, v7
	ds_bpermute_b32 v4, v4, v7
	v_lshl_or_b32 v2, s6, 8, v133
	v_lshlrev_b64 v[2:3], 2, v[2:3]
	v_add_co_u32_e32 v2, vcc, s28, v2
	s_waitcnt lgkmcnt(0)
	v_add_f32_e32 v4, v7, v4
	ds_bpermute_b32 v5, v5, v4
	v_cvt_f32_f16_e32 v7, v8
	v_cvt_f32_f16_e32 v8, v12
	;; [unrolled: 1-line block ×3, first 2 shown]
	v_addc_co_u32_e32 v3, vcc, v15, v3, vcc
	s_waitcnt lgkmcnt(0)
	v_add_f32_e32 v4, v4, v5
	ds_bpermute_b32 v5, v6, v4
	v_cvt_f32_f16_e32 v6, v14
	v_add_f32_e32 v7, 0, v7
	v_add_f32_e32 v7, v7, v8
	;; [unrolled: 1-line block ×3, first 2 shown]
	s_waitcnt lgkmcnt(0)
	v_add_f32_e32 v49, v4, v5
	v_add_f32_e32 v4, v7, v6
	v_div_scale_f32 v5, s[6:7], v49, v49, v4
	v_rcp_f32_e32 v6, v5
	v_fma_f32 v7, -v5, v6, 1.0
	v_fmac_f32_e32 v6, v7, v6
	v_div_scale_f32 v7, vcc, v4, v49, v4
	v_mul_f32_e32 v8, v7, v6
	v_fma_f32 v12, -v5, v8, v7
	v_fmac_f32_e32 v8, v12, v6
	v_fma_f32 v5, -v5, v8, v7
	ds_read_u16 v7, v135 offset:1792
	v_div_fmas_f32 v5, v5, v6, v8
	v_cvt_f32_f16_e32 v6, v11
	v_cvt_f32_f16_e32 v8, v10
	v_div_fixup_f32 v5, v5, v49, v4
	s_waitcnt lgkmcnt(0)
	v_cvt_f32_f16_e32 v7, v7
	v_add_f32_e32 v6, 0, v6
	v_add_f32_e32 v6, v6, v8
	;; [unrolled: 1-line block ×4, first 2 shown]
	v_div_scale_f32 v7, s[6:7], v49, v49, v6
	v_rcp_f32_e32 v8, v7
	v_cndmask_b32_e64 v4, v4, v5, s[4:5]
	global_store_dword v[2:3], v4, off
	v_fma_f32 v4, -v7, v8, 1.0
	v_fmac_f32_e32 v8, v4, v8
	v_div_scale_f32 v4, vcc, v6, v49, v6
	v_mul_f32_e32 v5, v4, v8
	v_fma_f32 v9, -v7, v5, v4
	v_fmac_f32_e32 v5, v9, v8
	v_fma_f32 v4, -v7, v5, v4
	v_div_fmas_f32 v4, v4, v8, v5
	v_div_fixup_f32 v4, v4, v49, v6
	v_cndmask_b32_e64 v4, v6, v4, s[4:5]
	global_store_dword v[2:3], v4, off offset:512
.LBB31_85:
	v_pk_mov_b32 v[172:173], v[0:1], v[0:1] op_sel:[0,1]
.LBB31_86:
	s_waitcnt lgkmcnt(0)
	s_cmp_lg_u32 s12, 1
	s_cselect_b64 s[4:5], -1, 0
	v_cmp_gt_u32_e32 vcc, 2, v133
	v_or_b32_e32 v0, s33, v127
	s_and_b64 s[4:5], vcc, s[4:5]
	v_cmp_gt_i32_e32 vcc, s34, v0
	s_and_b64 s[4:5], s[4:5], vcc
	s_and_saveexec_b64 s[6:7], s[4:5]
	s_cbranch_execz .LBB31_88
; %bb.87:
	v_add_u32_e32 v0, s8, v0
	v_mul_lo_u32 v0, v0, s35
	v_add_u32_e32 v0, s40, v0
	v_mul_lo_u32 v0, s12, v0
	v_add_u32_e32 v0, s9, v0
	v_mov_b32_e32 v1, 0
	v_cmp_eq_u32_e32 vcc, 1, v133
	v_lshlrev_b64 v[0:1], 3, v[0:1]
	v_cndmask_b32_e32 v2, v172, v173, vcc
	v_cndmask_b32_e32 v3, v48, v49, vcc
	v_mov_b32_e32 v4, s31
	v_add_co_u32_e32 v0, vcc, s30, v0
	v_addc_co_u32_e32 v1, vcc, v4, v1, vcc
	global_store_dwordx2 v[0:1], v[2:3], off
.LBB31_88:
	s_endpgm
	.section	.rodata,"a",@progbits
	.p2align	6, 0x0
	.amdhsa_kernel _ZL18flash_attn_ext_vecILi256ELi2EL9ggml_type6ELS0_8ELb1EEvPKcS2_S2_S2_S2_PKiPfP15HIP_vector_typeIfLj2EEffffjfiS6_IjLj3EEiiiiiiiiiiiliiliiiiil
		.amdhsa_group_segment_fixed_size 2560
		.amdhsa_private_segment_fixed_size 48
		.amdhsa_kernarg_size 464
		.amdhsa_user_sgpr_count 8
		.amdhsa_user_sgpr_private_segment_buffer 1
		.amdhsa_user_sgpr_dispatch_ptr 0
		.amdhsa_user_sgpr_queue_ptr 0
		.amdhsa_user_sgpr_kernarg_segment_ptr 1
		.amdhsa_user_sgpr_dispatch_id 0
		.amdhsa_user_sgpr_flat_scratch_init 1
		.amdhsa_user_sgpr_kernarg_preload_length 0
		.amdhsa_user_sgpr_kernarg_preload_offset 0
		.amdhsa_user_sgpr_private_segment_size 0
		.amdhsa_uses_dynamic_stack 0
		.amdhsa_system_sgpr_private_segment_wavefront_offset 1
		.amdhsa_system_sgpr_workgroup_id_x 1
		.amdhsa_system_sgpr_workgroup_id_y 1
		.amdhsa_system_sgpr_workgroup_id_z 1
		.amdhsa_system_sgpr_workgroup_info 0
		.amdhsa_system_vgpr_workitem_id 1
		.amdhsa_next_free_vgpr 220
		.amdhsa_next_free_sgpr 60
		.amdhsa_accum_offset 220
		.amdhsa_reserve_vcc 1
		.amdhsa_reserve_flat_scratch 0
		.amdhsa_float_round_mode_32 0
		.amdhsa_float_round_mode_16_64 0
		.amdhsa_float_denorm_mode_32 3
		.amdhsa_float_denorm_mode_16_64 3
		.amdhsa_dx10_clamp 1
		.amdhsa_ieee_mode 1
		.amdhsa_fp16_overflow 0
		.amdhsa_tg_split 0
		.amdhsa_exception_fp_ieee_invalid_op 0
		.amdhsa_exception_fp_denorm_src 0
		.amdhsa_exception_fp_ieee_div_zero 0
		.amdhsa_exception_fp_ieee_overflow 0
		.amdhsa_exception_fp_ieee_underflow 0
		.amdhsa_exception_fp_ieee_inexact 0
		.amdhsa_exception_int_div_zero 0
	.end_amdhsa_kernel
	.section	.text._ZL18flash_attn_ext_vecILi256ELi2EL9ggml_type6ELS0_8ELb1EEvPKcS2_S2_S2_S2_PKiPfP15HIP_vector_typeIfLj2EEffffjfiS6_IjLj3EEiiiiiiiiiiiliiliiiiil,"axG",@progbits,_ZL18flash_attn_ext_vecILi256ELi2EL9ggml_type6ELS0_8ELb1EEvPKcS2_S2_S2_S2_PKiPfP15HIP_vector_typeIfLj2EEffffjfiS6_IjLj3EEiiiiiiiiiiiliiliiiiil,comdat
.Lfunc_end31:
	.size	_ZL18flash_attn_ext_vecILi256ELi2EL9ggml_type6ELS0_8ELb1EEvPKcS2_S2_S2_S2_PKiPfP15HIP_vector_typeIfLj2EEffffjfiS6_IjLj3EEiiiiiiiiiiiliiliiiiil, .Lfunc_end31-_ZL18flash_attn_ext_vecILi256ELi2EL9ggml_type6ELS0_8ELb1EEvPKcS2_S2_S2_S2_PKiPfP15HIP_vector_typeIfLj2EEffffjfiS6_IjLj3EEiiiiiiiiiiiliiliiiiil
                                        ; -- End function
	.section	.AMDGPU.csdata,"",@progbits
; Kernel info:
; codeLenInByte = 31352
; NumSgprs: 64
; NumVgprs: 220
; NumAgprs: 0
; TotalNumVgprs: 220
; ScratchSize: 48
; MemoryBound: 0
; FloatMode: 240
; IeeeMode: 1
; LDSByteSize: 2560 bytes/workgroup (compile time only)
; SGPRBlocks: 7
; VGPRBlocks: 27
; NumSGPRsForWavesPerEU: 64
; NumVGPRsForWavesPerEU: 220
; AccumOffset: 220
; Occupancy: 2
; WaveLimiterHint : 0
; COMPUTE_PGM_RSRC2:SCRATCH_EN: 1
; COMPUTE_PGM_RSRC2:USER_SGPR: 8
; COMPUTE_PGM_RSRC2:TRAP_HANDLER: 0
; COMPUTE_PGM_RSRC2:TGID_X_EN: 1
; COMPUTE_PGM_RSRC2:TGID_Y_EN: 1
; COMPUTE_PGM_RSRC2:TGID_Z_EN: 1
; COMPUTE_PGM_RSRC2:TIDIG_COMP_CNT: 1
; COMPUTE_PGM_RSRC3_GFX90A:ACCUM_OFFSET: 54
; COMPUTE_PGM_RSRC3_GFX90A:TG_SPLIT: 0
	.text
	.p2alignl 6, 3212836864
	.fill 256, 4, 3212836864
	.type	.str.1,@object                  ; @.str.1
	.section	.rodata.str1.1,"aMS",@progbits,1
.str.1:
	.asciz	"/root/src/amdgpu-assembly/repos/ggml-org__llama.cpp/ggml/src/ggml-cuda/template-instances/../fattn-vec.cuh"
	.size	.str.1, 107

	.type	__FUNCTION__._ZL18flash_attn_ext_vecILi64ELi1EL9ggml_type6ELS0_8ELb1EEvPKcS2_S2_S2_S2_PKiPfP15HIP_vector_typeIfLj2EEffffjfiS6_IjLj3EEiiiiiiiiiiiliiliiiiil,@object ; @__FUNCTION__._ZL18flash_attn_ext_vecILi64ELi1EL9ggml_type6ELS0_8ELb1EEvPKcS2_S2_S2_S2_PKiPfP15HIP_vector_typeIfLj2EEffffjfiS6_IjLj3EEiiiiiiiiiiiliiliiiiil
__FUNCTION__._ZL18flash_attn_ext_vecILi64ELi1EL9ggml_type6ELS0_8ELb1EEvPKcS2_S2_S2_S2_PKiPfP15HIP_vector_typeIfLj2EEffffjfiS6_IjLj3EEiiiiiiiiiiiliiliiiiil:
	.asciz	"flash_attn_ext_vec"
	.size	__FUNCTION__._ZL18flash_attn_ext_vecILi64ELi1EL9ggml_type6ELS0_8ELb1EEvPKcS2_S2_S2_S2_PKiPfP15HIP_vector_typeIfLj2EEffffjfiS6_IjLj3EEiiiiiiiiiiiliiliiiiil, 19

	.type	.str.3,@object                  ; @.str.3
.str.3:
	.asciz	"%s:%d: ERROR: HIP kernel %s has no device code compatible with HIP arch %d.\n"
	.size	.str.3, 77

	.type	__hip_cuid_ac20bf206c706e82,@object ; @__hip_cuid_ac20bf206c706e82
	.section	.bss,"aw",@nobits
	.globl	__hip_cuid_ac20bf206c706e82
__hip_cuid_ac20bf206c706e82:
	.byte	0                               ; 0x0
	.size	__hip_cuid_ac20bf206c706e82, 1

	.ident	"AMD clang version 19.0.0git (https://github.com/RadeonOpenCompute/llvm-project roc-6.4.0 25133 c7fe45cf4b819c5991fe208aaa96edf142730f1d)"
	.section	".note.GNU-stack","",@progbits
	.addrsig
	.addrsig_sym __hip_cuid_ac20bf206c706e82
	.amdgpu_metadata
---
amdhsa.kernels:
  - .agpr_count:     0
    .args:
      - .address_space:  global
        .offset:         0
        .size:           8
        .value_kind:     global_buffer
      - .address_space:  global
        .offset:         8
        .size:           8
        .value_kind:     global_buffer
      - .address_space:  global
        .offset:         16
        .size:           8
        .value_kind:     global_buffer
      - .address_space:  global
        .offset:         24
        .size:           8
        .value_kind:     global_buffer
      - .address_space:  global
        .offset:         32
        .size:           8
        .value_kind:     global_buffer
      - .address_space:  global
        .offset:         40
        .size:           8
        .value_kind:     global_buffer
      - .address_space:  global
        .offset:         48
        .size:           8
        .value_kind:     global_buffer
      - .address_space:  global
        .offset:         56
        .size:           8
        .value_kind:     global_buffer
      - .offset:         64
        .size:           4
        .value_kind:     by_value
      - .offset:         68
        .size:           4
        .value_kind:     by_value
      - .offset:         72
        .size:           4
        .value_kind:     by_value
      - .offset:         76
        .size:           4
        .value_kind:     by_value
      - .offset:         80
        .size:           4
        .value_kind:     by_value
      - .offset:         84
        .size:           4
        .value_kind:     by_value
      - .offset:         88
        .size:           4
        .value_kind:     by_value
      - .offset:         92
        .size:           12
        .value_kind:     by_value
      - .offset:         104
        .size:           4
        .value_kind:     by_value
      - .offset:         108
        .size:           4
        .value_kind:     by_value
      - .offset:         112
        .size:           4
        .value_kind:     by_value
      - .offset:         116
        .size:           4
        .value_kind:     by_value
      - .offset:         120
        .size:           4
        .value_kind:     by_value
      - .offset:         124
        .size:           4
        .value_kind:     by_value
      - .offset:         128
        .size:           4
        .value_kind:     by_value
      - .offset:         132
        .size:           4
        .value_kind:     by_value
      - .offset:         136
        .size:           4
        .value_kind:     by_value
      - .offset:         140
        .size:           4
        .value_kind:     by_value
      - .offset:         144
        .size:           4
        .value_kind:     by_value
      - .offset:         152
        .size:           8
        .value_kind:     by_value
      - .offset:         160
        .size:           4
        .value_kind:     by_value
      - .offset:         164
        .size:           4
        .value_kind:     by_value
      - .offset:         168
        .size:           8
        .value_kind:     by_value
      - .offset:         176
        .size:           4
        .value_kind:     by_value
      - .offset:         180
        .size:           4
        .value_kind:     by_value
      - .offset:         184
        .size:           4
        .value_kind:     by_value
      - .offset:         188
        .size:           4
        .value_kind:     by_value
      - .offset:         192
        .size:           4
        .value_kind:     by_value
      - .offset:         200
        .size:           8
        .value_kind:     by_value
      - .offset:         208
        .size:           4
        .value_kind:     hidden_block_count_x
      - .offset:         212
        .size:           4
        .value_kind:     hidden_block_count_y
      - .offset:         216
        .size:           4
        .value_kind:     hidden_block_count_z
      - .offset:         220
        .size:           2
        .value_kind:     hidden_group_size_x
      - .offset:         222
        .size:           2
        .value_kind:     hidden_group_size_y
      - .offset:         224
        .size:           2
        .value_kind:     hidden_group_size_z
      - .offset:         226
        .size:           2
        .value_kind:     hidden_remainder_x
      - .offset:         228
        .size:           2
        .value_kind:     hidden_remainder_y
      - .offset:         230
        .size:           2
        .value_kind:     hidden_remainder_z
      - .offset:         248
        .size:           8
        .value_kind:     hidden_global_offset_x
      - .offset:         256
        .size:           8
        .value_kind:     hidden_global_offset_y
      - .offset:         264
        .size:           8
        .value_kind:     hidden_global_offset_z
      - .offset:         272
        .size:           2
        .value_kind:     hidden_grid_dims
    .group_segment_fixed_size: 1280
    .kernarg_segment_align: 8
    .kernarg_segment_size: 464
    .language:       OpenCL C
    .language_version:
      - 2
      - 0
    .max_flat_workgroup_size: 128
    .name:           _ZL18flash_attn_ext_vecILi64ELi1EL9ggml_type6ELS0_8ELb0EEvPKcS2_S2_S2_S2_PKiPfP15HIP_vector_typeIfLj2EEffffjfiS6_IjLj3EEiiiiiiiiiiiliiliiiiil
    .private_segment_fixed_size: 0
    .sgpr_count:     66
    .sgpr_spill_count: 0
    .symbol:         _ZL18flash_attn_ext_vecILi64ELi1EL9ggml_type6ELS0_8ELb0EEvPKcS2_S2_S2_S2_PKiPfP15HIP_vector_typeIfLj2EEffffjfiS6_IjLj3EEiiiiiiiiiiiliiliiiiil.kd
    .uniform_work_group_size: 1
    .uses_dynamic_stack: false
    .vgpr_count:     129
    .vgpr_spill_count: 0
    .wavefront_size: 64
  - .agpr_count:     0
    .args:
      - .actual_access:  read_only
        .address_space:  global
        .offset:         0
        .size:           8
        .value_kind:     global_buffer
      - .actual_access:  write_only
        .address_space:  global
        .offset:         8
        .size:           8
        .value_kind:     global_buffer
      - .offset:         16
        .size:           4
        .value_kind:     by_value
      - .offset:         20
        .size:           4
        .value_kind:     by_value
      - .offset:         24
        .size:           4
        .value_kind:     by_value
      - .offset:         32
        .size:           4
        .value_kind:     hidden_block_count_x
      - .offset:         36
        .size:           4
        .value_kind:     hidden_block_count_y
      - .offset:         40
        .size:           4
        .value_kind:     hidden_block_count_z
      - .offset:         44
        .size:           2
        .value_kind:     hidden_group_size_x
      - .offset:         46
        .size:           2
        .value_kind:     hidden_group_size_y
      - .offset:         48
        .size:           2
        .value_kind:     hidden_group_size_z
      - .offset:         50
        .size:           2
        .value_kind:     hidden_remainder_x
      - .offset:         52
        .size:           2
        .value_kind:     hidden_remainder_y
      - .offset:         54
        .size:           2
        .value_kind:     hidden_remainder_z
      - .offset:         72
        .size:           8
        .value_kind:     hidden_global_offset_x
      - .offset:         80
        .size:           8
        .value_kind:     hidden_global_offset_y
      - .offset:         88
        .size:           8
        .value_kind:     hidden_global_offset_z
      - .offset:         96
        .size:           2
        .value_kind:     hidden_grid_dims
    .group_segment_fixed_size: 128
    .kernarg_segment_align: 8
    .kernarg_segment_size: 288
    .language:       OpenCL C
    .language_version:
      - 2
      - 0
    .max_flat_workgroup_size: 128
    .name:           _ZL25flash_attn_mask_to_KV_maxILi1EEvPK7__half2Piiii
    .private_segment_fixed_size: 0
    .sgpr_count:     24
    .sgpr_spill_count: 0
    .symbol:         _ZL25flash_attn_mask_to_KV_maxILi1EEvPK7__half2Piiii.kd
    .uniform_work_group_size: 1
    .uses_dynamic_stack: false
    .vgpr_count:     18
    .vgpr_spill_count: 0
    .wavefront_size: 64
  - .agpr_count:     0
    .args:
      - .address_space:  global
        .offset:         0
        .size:           8
        .value_kind:     global_buffer
      - .address_space:  global
        .offset:         8
        .size:           8
        .value_kind:     global_buffer
      - .offset:         16
        .size:           4
        .value_kind:     by_value
      - .offset:         20
        .size:           4
        .value_kind:     by_value
      - .offset:         24
        .size:           4
        .value_kind:     by_value
      - .offset:         28
        .size:           4
        .value_kind:     by_value
      - .offset:         32
        .size:           4
        .value_kind:     by_value
      - .offset:         36
        .size:           4
        .value_kind:     by_value
      - .offset:         40
        .size:           12
        .value_kind:     by_value
      - .offset:         52
        .size:           12
        .value_kind:     by_value
      - .offset:         64
        .size:           12
        .value_kind:     by_value
    .group_segment_fixed_size: 0
    .kernarg_segment_align: 8
    .kernarg_segment_size: 76
    .language:       OpenCL C
    .language_version:
      - 2
      - 0
    .max_flat_workgroup_size: 64
    .name:           _ZL33flash_attn_stream_k_fixup_uniformILi64ELi1ELi1EEvPfPK15HIP_vector_typeIfLj2EEiiiiiiS1_IjLj3EES5_S5_
    .private_segment_fixed_size: 0
    .sgpr_count:     24
    .sgpr_spill_count: 0
    .symbol:         _ZL33flash_attn_stream_k_fixup_uniformILi64ELi1ELi1EEvPfPK15HIP_vector_typeIfLj2EEiiiiiiS1_IjLj3EES5_S5_.kd
    .uniform_work_group_size: 1
    .uses_dynamic_stack: false
    .vgpr_count:     17
    .vgpr_spill_count: 0
    .wavefront_size: 64
  - .agpr_count:     0
    .args:
      - .address_space:  global
        .offset:         0
        .size:           8
        .value_kind:     global_buffer
      - .address_space:  global
        .offset:         8
        .size:           8
        .value_kind:     global_buffer
      - .offset:         16
        .size:           4
        .value_kind:     by_value
      - .offset:         20
        .size:           4
        .value_kind:     by_value
      - .offset:         24
        .size:           4
        .value_kind:     by_value
      - .offset:         28
        .size:           4
        .value_kind:     by_value
      - .offset:         32
        .size:           12
        .value_kind:     by_value
      - .offset:         44
        .size:           12
        .value_kind:     by_value
      - .offset:         56
        .size:           12
        .value_kind:     by_value
      - .offset:         68
        .size:           12
        .value_kind:     by_value
      - .offset:         80
        .size:           4
        .value_kind:     hidden_block_count_x
      - .offset:         84
        .size:           4
        .value_kind:     hidden_block_count_y
      - .offset:         88
        .size:           4
        .value_kind:     hidden_block_count_z
      - .offset:         92
        .size:           2
        .value_kind:     hidden_group_size_x
      - .offset:         94
        .size:           2
        .value_kind:     hidden_group_size_y
      - .offset:         96
        .size:           2
        .value_kind:     hidden_group_size_z
      - .offset:         98
        .size:           2
        .value_kind:     hidden_remainder_x
      - .offset:         100
        .size:           2
        .value_kind:     hidden_remainder_y
      - .offset:         102
        .size:           2
        .value_kind:     hidden_remainder_z
      - .offset:         120
        .size:           8
        .value_kind:     hidden_global_offset_x
      - .offset:         128
        .size:           8
        .value_kind:     hidden_global_offset_y
      - .offset:         136
        .size:           8
        .value_kind:     hidden_global_offset_z
      - .offset:         144
        .size:           2
        .value_kind:     hidden_grid_dims
    .group_segment_fixed_size: 0
    .kernarg_segment_align: 8
    .kernarg_segment_size: 336
    .language:       OpenCL C
    .language_version:
      - 2
      - 0
    .max_flat_workgroup_size: 64
    .name:           _ZL33flash_attn_stream_k_fixup_generalILi64ELi1ELi1EEvPfPK15HIP_vector_typeIfLj2EEiiiiS1_IjLj3EES5_S5_S5_
    .private_segment_fixed_size: 0
    .sgpr_count:     36
    .sgpr_spill_count: 0
    .symbol:         _ZL33flash_attn_stream_k_fixup_generalILi64ELi1ELi1EEvPfPK15HIP_vector_typeIfLj2EEiiiiS1_IjLj3EES5_S5_S5_.kd
    .uniform_work_group_size: 1
    .uses_dynamic_stack: false
    .vgpr_count:     22
    .vgpr_spill_count: 0
    .wavefront_size: 64
  - .agpr_count:     0
    .args:
      - .address_space:  global
        .offset:         0
        .size:           8
        .value_kind:     global_buffer
      - .address_space:  global
        .offset:         8
        .size:           8
        .value_kind:     global_buffer
      - .address_space:  global
        .offset:         16
        .size:           8
        .value_kind:     global_buffer
      - .offset:         24
        .size:           4
        .value_kind:     by_value
      - .offset:         32
        .size:           4
        .value_kind:     hidden_block_count_x
      - .offset:         36
        .size:           4
        .value_kind:     hidden_block_count_y
      - .offset:         40
        .size:           4
        .value_kind:     hidden_block_count_z
      - .offset:         44
        .size:           2
        .value_kind:     hidden_group_size_x
      - .offset:         46
        .size:           2
        .value_kind:     hidden_group_size_y
      - .offset:         48
        .size:           2
        .value_kind:     hidden_group_size_z
      - .offset:         50
        .size:           2
        .value_kind:     hidden_remainder_x
      - .offset:         52
        .size:           2
        .value_kind:     hidden_remainder_y
      - .offset:         54
        .size:           2
        .value_kind:     hidden_remainder_z
      - .offset:         72
        .size:           8
        .value_kind:     hidden_global_offset_x
      - .offset:         80
        .size:           8
        .value_kind:     hidden_global_offset_y
      - .offset:         88
        .size:           8
        .value_kind:     hidden_global_offset_z
      - .offset:         96
        .size:           2
        .value_kind:     hidden_grid_dims
      - .offset:         152
        .size:           4
        .value_kind:     hidden_dynamic_lds_size
    .group_segment_fixed_size: 0
    .kernarg_segment_align: 8
    .kernarg_segment_size: 288
    .language:       OpenCL C
    .language_version:
      - 2
      - 0
    .max_flat_workgroup_size: 64
    .name:           _ZL26flash_attn_combine_resultsILi64EEvPKfPK15HIP_vector_typeIfLj2EEPfi
    .private_segment_fixed_size: 0
    .sgpr_count:     30
    .sgpr_spill_count: 0
    .symbol:         _ZL26flash_attn_combine_resultsILi64EEvPKfPK15HIP_vector_typeIfLj2EEPfi.kd
    .uniform_work_group_size: 1
    .uses_dynamic_stack: false
    .vgpr_count:     51
    .vgpr_spill_count: 0
    .wavefront_size: 64
  - .agpr_count:     0
    .args:
      - .address_space:  global
        .offset:         0
        .size:           8
        .value_kind:     global_buffer
      - .address_space:  global
        .offset:         8
        .size:           8
        .value_kind:     global_buffer
      - .address_space:  global
        .offset:         16
        .size:           8
        .value_kind:     global_buffer
      - .address_space:  global
        .offset:         24
        .size:           8
        .value_kind:     global_buffer
      - .address_space:  global
        .offset:         32
        .size:           8
        .value_kind:     global_buffer
      - .address_space:  global
        .offset:         40
        .size:           8
        .value_kind:     global_buffer
      - .address_space:  global
        .offset:         48
        .size:           8
        .value_kind:     global_buffer
      - .address_space:  global
        .offset:         56
        .size:           8
        .value_kind:     global_buffer
      - .offset:         64
        .size:           4
        .value_kind:     by_value
      - .offset:         68
        .size:           4
        .value_kind:     by_value
      - .offset:         72
        .size:           4
        .value_kind:     by_value
      - .offset:         76
        .size:           4
        .value_kind:     by_value
      - .offset:         80
        .size:           4
        .value_kind:     by_value
      - .offset:         84
        .size:           4
        .value_kind:     by_value
      - .offset:         88
        .size:           4
        .value_kind:     by_value
      - .offset:         92
        .size:           12
        .value_kind:     by_value
      - .offset:         104
        .size:           4
        .value_kind:     by_value
      - .offset:         108
        .size:           4
        .value_kind:     by_value
      - .offset:         112
        .size:           4
        .value_kind:     by_value
      - .offset:         116
        .size:           4
        .value_kind:     by_value
      - .offset:         120
        .size:           4
        .value_kind:     by_value
      - .offset:         124
        .size:           4
        .value_kind:     by_value
      - .offset:         128
        .size:           4
        .value_kind:     by_value
      - .offset:         132
        .size:           4
        .value_kind:     by_value
      - .offset:         136
        .size:           4
        .value_kind:     by_value
      - .offset:         140
        .size:           4
        .value_kind:     by_value
      - .offset:         144
        .size:           4
        .value_kind:     by_value
      - .offset:         152
        .size:           8
        .value_kind:     by_value
      - .offset:         160
        .size:           4
        .value_kind:     by_value
      - .offset:         164
        .size:           4
        .value_kind:     by_value
      - .offset:         168
        .size:           8
        .value_kind:     by_value
      - .offset:         176
        .size:           4
        .value_kind:     by_value
      - .offset:         180
        .size:           4
        .value_kind:     by_value
      - .offset:         184
        .size:           4
        .value_kind:     by_value
      - .offset:         188
        .size:           4
        .value_kind:     by_value
      - .offset:         192
        .size:           4
        .value_kind:     by_value
      - .offset:         200
        .size:           8
        .value_kind:     by_value
      - .offset:         208
        .size:           4
        .value_kind:     hidden_block_count_x
      - .offset:         212
        .size:           4
        .value_kind:     hidden_block_count_y
      - .offset:         216
        .size:           4
        .value_kind:     hidden_block_count_z
      - .offset:         220
        .size:           2
        .value_kind:     hidden_group_size_x
      - .offset:         222
        .size:           2
        .value_kind:     hidden_group_size_y
      - .offset:         224
        .size:           2
        .value_kind:     hidden_group_size_z
      - .offset:         226
        .size:           2
        .value_kind:     hidden_remainder_x
      - .offset:         228
        .size:           2
        .value_kind:     hidden_remainder_y
      - .offset:         230
        .size:           2
        .value_kind:     hidden_remainder_z
      - .offset:         248
        .size:           8
        .value_kind:     hidden_global_offset_x
      - .offset:         256
        .size:           8
        .value_kind:     hidden_global_offset_y
      - .offset:         264
        .size:           8
        .value_kind:     hidden_global_offset_z
      - .offset:         272
        .size:           2
        .value_kind:     hidden_grid_dims
      - .offset:         288
        .size:           8
        .value_kind:     hidden_hostcall_buffer
    .group_segment_fixed_size: 0
    .kernarg_segment_align: 8
    .kernarg_segment_size: 464
    .language:       OpenCL C
    .language_version:
      - 2
      - 0
    .max_flat_workgroup_size: 128
    .name:           _ZL18flash_attn_ext_vecILi64ELi1EL9ggml_type6ELS0_8ELb1EEvPKcS2_S2_S2_S2_PKiPfP15HIP_vector_typeIfLj2EEffffjfiS6_IjLj3EEiiiiiiiiiiiliiliiiiil
    .private_segment_fixed_size: 16
    .sgpr_count:     40
    .sgpr_spill_count: 0
    .symbol:         _ZL18flash_attn_ext_vecILi64ELi1EL9ggml_type6ELS0_8ELb1EEvPKcS2_S2_S2_S2_PKiPfP15HIP_vector_typeIfLj2EEffffjfiS6_IjLj3EEiiiiiiiiiiiliiliiiiil.kd
    .uniform_work_group_size: 1
    .uses_dynamic_stack: false
    .vgpr_count:     39
    .vgpr_spill_count: 0
    .wavefront_size: 64
  - .agpr_count:     0
    .args:
      - .address_space:  global
        .offset:         0
        .size:           8
        .value_kind:     global_buffer
      - .address_space:  global
        .offset:         8
        .size:           8
        .value_kind:     global_buffer
      - .address_space:  global
        .offset:         16
        .size:           8
        .value_kind:     global_buffer
      - .address_space:  global
        .offset:         24
        .size:           8
        .value_kind:     global_buffer
      - .address_space:  global
        .offset:         32
        .size:           8
        .value_kind:     global_buffer
      - .address_space:  global
        .offset:         40
        .size:           8
        .value_kind:     global_buffer
      - .address_space:  global
        .offset:         48
        .size:           8
        .value_kind:     global_buffer
      - .address_space:  global
        .offset:         56
        .size:           8
        .value_kind:     global_buffer
      - .offset:         64
        .size:           4
        .value_kind:     by_value
      - .offset:         68
        .size:           4
        .value_kind:     by_value
      - .offset:         72
        .size:           4
        .value_kind:     by_value
      - .offset:         76
        .size:           4
        .value_kind:     by_value
      - .offset:         80
        .size:           4
        .value_kind:     by_value
      - .offset:         84
        .size:           4
        .value_kind:     by_value
      - .offset:         88
        .size:           4
        .value_kind:     by_value
      - .offset:         92
        .size:           12
        .value_kind:     by_value
      - .offset:         104
        .size:           4
        .value_kind:     by_value
      - .offset:         108
        .size:           4
        .value_kind:     by_value
      - .offset:         112
        .size:           4
        .value_kind:     by_value
      - .offset:         116
        .size:           4
        .value_kind:     by_value
      - .offset:         120
        .size:           4
        .value_kind:     by_value
      - .offset:         124
        .size:           4
        .value_kind:     by_value
      - .offset:         128
        .size:           4
        .value_kind:     by_value
      - .offset:         132
        .size:           4
        .value_kind:     by_value
      - .offset:         136
        .size:           4
        .value_kind:     by_value
      - .offset:         140
        .size:           4
        .value_kind:     by_value
      - .offset:         144
        .size:           4
        .value_kind:     by_value
      - .offset:         152
        .size:           8
        .value_kind:     by_value
      - .offset:         160
        .size:           4
        .value_kind:     by_value
      - .offset:         164
        .size:           4
        .value_kind:     by_value
      - .offset:         168
        .size:           8
        .value_kind:     by_value
      - .offset:         176
        .size:           4
        .value_kind:     by_value
      - .offset:         180
        .size:           4
        .value_kind:     by_value
      - .offset:         184
        .size:           4
        .value_kind:     by_value
      - .offset:         188
        .size:           4
        .value_kind:     by_value
      - .offset:         192
        .size:           4
        .value_kind:     by_value
      - .offset:         200
        .size:           8
        .value_kind:     by_value
      - .offset:         208
        .size:           4
        .value_kind:     hidden_block_count_x
      - .offset:         212
        .size:           4
        .value_kind:     hidden_block_count_y
      - .offset:         216
        .size:           4
        .value_kind:     hidden_block_count_z
      - .offset:         220
        .size:           2
        .value_kind:     hidden_group_size_x
      - .offset:         222
        .size:           2
        .value_kind:     hidden_group_size_y
      - .offset:         224
        .size:           2
        .value_kind:     hidden_group_size_z
      - .offset:         226
        .size:           2
        .value_kind:     hidden_remainder_x
      - .offset:         228
        .size:           2
        .value_kind:     hidden_remainder_y
      - .offset:         230
        .size:           2
        .value_kind:     hidden_remainder_z
      - .offset:         248
        .size:           8
        .value_kind:     hidden_global_offset_x
      - .offset:         256
        .size:           8
        .value_kind:     hidden_global_offset_y
      - .offset:         264
        .size:           8
        .value_kind:     hidden_global_offset_z
      - .offset:         272
        .size:           2
        .value_kind:     hidden_grid_dims
    .group_segment_fixed_size: 3584
    .kernarg_segment_align: 8
    .kernarg_segment_size: 464
    .language:       OpenCL C
    .language_version:
      - 2
      - 0
    .max_flat_workgroup_size: 128
    .name:           _ZL18flash_attn_ext_vecILi64ELi2EL9ggml_type6ELS0_8ELb0EEvPKcS2_S2_S2_S2_PKiPfP15HIP_vector_typeIfLj2EEffffjfiS6_IjLj3EEiiiiiiiiiiiliiliiiiil
    .private_segment_fixed_size: 0
    .sgpr_count:     72
    .sgpr_spill_count: 0
    .symbol:         _ZL18flash_attn_ext_vecILi64ELi2EL9ggml_type6ELS0_8ELb0EEvPKcS2_S2_S2_S2_PKiPfP15HIP_vector_typeIfLj2EEffffjfiS6_IjLj3EEiiiiiiiiiiiliiliiiiil.kd
    .uniform_work_group_size: 1
    .uses_dynamic_stack: false
    .vgpr_count:     162
    .vgpr_spill_count: 0
    .wavefront_size: 64
  - .agpr_count:     0
    .args:
      - .actual_access:  read_only
        .address_space:  global
        .offset:         0
        .size:           8
        .value_kind:     global_buffer
      - .actual_access:  write_only
        .address_space:  global
        .offset:         8
        .size:           8
        .value_kind:     global_buffer
      - .offset:         16
        .size:           4
        .value_kind:     by_value
      - .offset:         20
        .size:           4
        .value_kind:     by_value
      - .offset:         24
        .size:           4
        .value_kind:     by_value
      - .offset:         32
        .size:           4
        .value_kind:     hidden_block_count_x
      - .offset:         36
        .size:           4
        .value_kind:     hidden_block_count_y
      - .offset:         40
        .size:           4
        .value_kind:     hidden_block_count_z
      - .offset:         44
        .size:           2
        .value_kind:     hidden_group_size_x
      - .offset:         46
        .size:           2
        .value_kind:     hidden_group_size_y
      - .offset:         48
        .size:           2
        .value_kind:     hidden_group_size_z
      - .offset:         50
        .size:           2
        .value_kind:     hidden_remainder_x
      - .offset:         52
        .size:           2
        .value_kind:     hidden_remainder_y
      - .offset:         54
        .size:           2
        .value_kind:     hidden_remainder_z
      - .offset:         72
        .size:           8
        .value_kind:     hidden_global_offset_x
      - .offset:         80
        .size:           8
        .value_kind:     hidden_global_offset_y
      - .offset:         88
        .size:           8
        .value_kind:     hidden_global_offset_z
      - .offset:         96
        .size:           2
        .value_kind:     hidden_grid_dims
    .group_segment_fixed_size: 128
    .kernarg_segment_align: 8
    .kernarg_segment_size: 288
    .language:       OpenCL C
    .language_version:
      - 2
      - 0
    .max_flat_workgroup_size: 128
    .name:           _ZL25flash_attn_mask_to_KV_maxILi2EEvPK7__half2Piiii
    .private_segment_fixed_size: 0
    .sgpr_count:     30
    .sgpr_spill_count: 0
    .symbol:         _ZL25flash_attn_mask_to_KV_maxILi2EEvPK7__half2Piiii.kd
    .uniform_work_group_size: 1
    .uses_dynamic_stack: false
    .vgpr_count:     17
    .vgpr_spill_count: 0
    .wavefront_size: 64
  - .agpr_count:     0
    .args:
      - .address_space:  global
        .offset:         0
        .size:           8
        .value_kind:     global_buffer
      - .address_space:  global
        .offset:         8
        .size:           8
        .value_kind:     global_buffer
      - .offset:         16
        .size:           4
        .value_kind:     by_value
      - .offset:         20
        .size:           4
        .value_kind:     by_value
      - .offset:         24
        .size:           4
        .value_kind:     by_value
      - .offset:         28
        .size:           4
        .value_kind:     by_value
      - .offset:         32
        .size:           4
        .value_kind:     by_value
      - .offset:         36
        .size:           4
        .value_kind:     by_value
      - .offset:         40
        .size:           12
        .value_kind:     by_value
      - .offset:         52
        .size:           12
        .value_kind:     by_value
      - .offset:         64
        .size:           12
        .value_kind:     by_value
    .group_segment_fixed_size: 0
    .kernarg_segment_align: 8
    .kernarg_segment_size: 76
    .language:       OpenCL C
    .language_version:
      - 2
      - 0
    .max_flat_workgroup_size: 64
    .name:           _ZL33flash_attn_stream_k_fixup_uniformILi64ELi2ELi1EEvPfPK15HIP_vector_typeIfLj2EEiiiiiiS1_IjLj3EES5_S5_
    .private_segment_fixed_size: 0
    .sgpr_count:     24
    .sgpr_spill_count: 0
    .symbol:         _ZL33flash_attn_stream_k_fixup_uniformILi64ELi2ELi1EEvPfPK15HIP_vector_typeIfLj2EEiiiiiiS1_IjLj3EES5_S5_.kd
    .uniform_work_group_size: 1
    .uses_dynamic_stack: false
    .vgpr_count:     17
    .vgpr_spill_count: 0
    .wavefront_size: 64
  - .agpr_count:     0
    .args:
      - .address_space:  global
        .offset:         0
        .size:           8
        .value_kind:     global_buffer
      - .address_space:  global
        .offset:         8
        .size:           8
        .value_kind:     global_buffer
      - .offset:         16
        .size:           4
        .value_kind:     by_value
      - .offset:         20
        .size:           4
        .value_kind:     by_value
      - .offset:         24
        .size:           4
        .value_kind:     by_value
      - .offset:         28
        .size:           4
        .value_kind:     by_value
      - .offset:         32
        .size:           12
        .value_kind:     by_value
      - .offset:         44
        .size:           12
        .value_kind:     by_value
      - .offset:         56
        .size:           12
        .value_kind:     by_value
      - .offset:         68
        .size:           12
        .value_kind:     by_value
      - .offset:         80
        .size:           4
        .value_kind:     hidden_block_count_x
      - .offset:         84
        .size:           4
        .value_kind:     hidden_block_count_y
      - .offset:         88
        .size:           4
        .value_kind:     hidden_block_count_z
      - .offset:         92
        .size:           2
        .value_kind:     hidden_group_size_x
      - .offset:         94
        .size:           2
        .value_kind:     hidden_group_size_y
      - .offset:         96
        .size:           2
        .value_kind:     hidden_group_size_z
      - .offset:         98
        .size:           2
        .value_kind:     hidden_remainder_x
      - .offset:         100
        .size:           2
        .value_kind:     hidden_remainder_y
      - .offset:         102
        .size:           2
        .value_kind:     hidden_remainder_z
      - .offset:         120
        .size:           8
        .value_kind:     hidden_global_offset_x
      - .offset:         128
        .size:           8
        .value_kind:     hidden_global_offset_y
      - .offset:         136
        .size:           8
        .value_kind:     hidden_global_offset_z
      - .offset:         144
        .size:           2
        .value_kind:     hidden_grid_dims
    .group_segment_fixed_size: 0
    .kernarg_segment_align: 8
    .kernarg_segment_size: 336
    .language:       OpenCL C
    .language_version:
      - 2
      - 0
    .max_flat_workgroup_size: 64
    .name:           _ZL33flash_attn_stream_k_fixup_generalILi64ELi2ELi1EEvPfPK15HIP_vector_typeIfLj2EEiiiiS1_IjLj3EES5_S5_S5_
    .private_segment_fixed_size: 0
    .sgpr_count:     36
    .sgpr_spill_count: 0
    .symbol:         _ZL33flash_attn_stream_k_fixup_generalILi64ELi2ELi1EEvPfPK15HIP_vector_typeIfLj2EEiiiiS1_IjLj3EES5_S5_S5_.kd
    .uniform_work_group_size: 1
    .uses_dynamic_stack: false
    .vgpr_count:     22
    .vgpr_spill_count: 0
    .wavefront_size: 64
  - .agpr_count:     0
    .args:
      - .address_space:  global
        .offset:         0
        .size:           8
        .value_kind:     global_buffer
      - .address_space:  global
        .offset:         8
        .size:           8
        .value_kind:     global_buffer
      - .address_space:  global
        .offset:         16
        .size:           8
        .value_kind:     global_buffer
      - .address_space:  global
        .offset:         24
        .size:           8
        .value_kind:     global_buffer
      - .address_space:  global
        .offset:         32
        .size:           8
        .value_kind:     global_buffer
      - .address_space:  global
        .offset:         40
        .size:           8
        .value_kind:     global_buffer
      - .address_space:  global
        .offset:         48
        .size:           8
        .value_kind:     global_buffer
      - .address_space:  global
        .offset:         56
        .size:           8
        .value_kind:     global_buffer
      - .offset:         64
        .size:           4
        .value_kind:     by_value
      - .offset:         68
        .size:           4
        .value_kind:     by_value
      - .offset:         72
        .size:           4
        .value_kind:     by_value
      - .offset:         76
        .size:           4
        .value_kind:     by_value
      - .offset:         80
        .size:           4
        .value_kind:     by_value
      - .offset:         84
        .size:           4
        .value_kind:     by_value
      - .offset:         88
        .size:           4
        .value_kind:     by_value
      - .offset:         92
        .size:           12
        .value_kind:     by_value
      - .offset:         104
        .size:           4
        .value_kind:     by_value
      - .offset:         108
        .size:           4
        .value_kind:     by_value
      - .offset:         112
        .size:           4
        .value_kind:     by_value
      - .offset:         116
        .size:           4
        .value_kind:     by_value
      - .offset:         120
        .size:           4
        .value_kind:     by_value
      - .offset:         124
        .size:           4
        .value_kind:     by_value
      - .offset:         128
        .size:           4
        .value_kind:     by_value
      - .offset:         132
        .size:           4
        .value_kind:     by_value
      - .offset:         136
        .size:           4
        .value_kind:     by_value
      - .offset:         140
        .size:           4
        .value_kind:     by_value
      - .offset:         144
        .size:           4
        .value_kind:     by_value
      - .offset:         152
        .size:           8
        .value_kind:     by_value
      - .offset:         160
        .size:           4
        .value_kind:     by_value
      - .offset:         164
        .size:           4
        .value_kind:     by_value
      - .offset:         168
        .size:           8
        .value_kind:     by_value
      - .offset:         176
        .size:           4
        .value_kind:     by_value
      - .offset:         180
        .size:           4
        .value_kind:     by_value
      - .offset:         184
        .size:           4
        .value_kind:     by_value
      - .offset:         188
        .size:           4
        .value_kind:     by_value
      - .offset:         192
        .size:           4
        .value_kind:     by_value
      - .offset:         200
        .size:           8
        .value_kind:     by_value
      - .offset:         208
        .size:           4
        .value_kind:     hidden_block_count_x
      - .offset:         212
        .size:           4
        .value_kind:     hidden_block_count_y
      - .offset:         216
        .size:           4
        .value_kind:     hidden_block_count_z
      - .offset:         220
        .size:           2
        .value_kind:     hidden_group_size_x
      - .offset:         222
        .size:           2
        .value_kind:     hidden_group_size_y
      - .offset:         224
        .size:           2
        .value_kind:     hidden_group_size_z
      - .offset:         226
        .size:           2
        .value_kind:     hidden_remainder_x
      - .offset:         228
        .size:           2
        .value_kind:     hidden_remainder_y
      - .offset:         230
        .size:           2
        .value_kind:     hidden_remainder_z
      - .offset:         248
        .size:           8
        .value_kind:     hidden_global_offset_x
      - .offset:         256
        .size:           8
        .value_kind:     hidden_global_offset_y
      - .offset:         264
        .size:           8
        .value_kind:     hidden_global_offset_z
      - .offset:         272
        .size:           2
        .value_kind:     hidden_grid_dims
      - .offset:         288
        .size:           8
        .value_kind:     hidden_hostcall_buffer
    .group_segment_fixed_size: 0
    .kernarg_segment_align: 8
    .kernarg_segment_size: 464
    .language:       OpenCL C
    .language_version:
      - 2
      - 0
    .max_flat_workgroup_size: 128
    .name:           _ZL18flash_attn_ext_vecILi64ELi2EL9ggml_type6ELS0_8ELb1EEvPKcS2_S2_S2_S2_PKiPfP15HIP_vector_typeIfLj2EEffffjfiS6_IjLj3EEiiiiiiiiiiiliiliiiiil
    .private_segment_fixed_size: 16
    .sgpr_count:     40
    .sgpr_spill_count: 0
    .symbol:         _ZL18flash_attn_ext_vecILi64ELi2EL9ggml_type6ELS0_8ELb1EEvPKcS2_S2_S2_S2_PKiPfP15HIP_vector_typeIfLj2EEffffjfiS6_IjLj3EEiiiiiiiiiiiliiliiiiil.kd
    .uniform_work_group_size: 1
    .uses_dynamic_stack: false
    .vgpr_count:     39
    .vgpr_spill_count: 0
    .wavefront_size: 64
  - .agpr_count:     0
    .args:
      - .address_space:  global
        .offset:         0
        .size:           8
        .value_kind:     global_buffer
      - .address_space:  global
        .offset:         8
        .size:           8
        .value_kind:     global_buffer
      - .address_space:  global
        .offset:         16
        .size:           8
        .value_kind:     global_buffer
      - .address_space:  global
        .offset:         24
        .size:           8
        .value_kind:     global_buffer
      - .address_space:  global
        .offset:         32
        .size:           8
        .value_kind:     global_buffer
      - .address_space:  global
        .offset:         40
        .size:           8
        .value_kind:     global_buffer
      - .address_space:  global
        .offset:         48
        .size:           8
        .value_kind:     global_buffer
      - .address_space:  global
        .offset:         56
        .size:           8
        .value_kind:     global_buffer
      - .offset:         64
        .size:           4
        .value_kind:     by_value
      - .offset:         68
        .size:           4
        .value_kind:     by_value
      - .offset:         72
        .size:           4
        .value_kind:     by_value
      - .offset:         76
        .size:           4
        .value_kind:     by_value
      - .offset:         80
        .size:           4
        .value_kind:     by_value
      - .offset:         84
        .size:           4
        .value_kind:     by_value
      - .offset:         88
        .size:           4
        .value_kind:     by_value
      - .offset:         92
        .size:           12
        .value_kind:     by_value
      - .offset:         104
        .size:           4
        .value_kind:     by_value
      - .offset:         108
        .size:           4
        .value_kind:     by_value
      - .offset:         112
        .size:           4
        .value_kind:     by_value
      - .offset:         116
        .size:           4
        .value_kind:     by_value
      - .offset:         120
        .size:           4
        .value_kind:     by_value
      - .offset:         124
        .size:           4
        .value_kind:     by_value
      - .offset:         128
        .size:           4
        .value_kind:     by_value
      - .offset:         132
        .size:           4
        .value_kind:     by_value
      - .offset:         136
        .size:           4
        .value_kind:     by_value
      - .offset:         140
        .size:           4
        .value_kind:     by_value
      - .offset:         144
        .size:           4
        .value_kind:     by_value
      - .offset:         152
        .size:           8
        .value_kind:     by_value
      - .offset:         160
        .size:           4
        .value_kind:     by_value
      - .offset:         164
        .size:           4
        .value_kind:     by_value
      - .offset:         168
        .size:           8
        .value_kind:     by_value
      - .offset:         176
        .size:           4
        .value_kind:     by_value
      - .offset:         180
        .size:           4
        .value_kind:     by_value
      - .offset:         184
        .size:           4
        .value_kind:     by_value
      - .offset:         188
        .size:           4
        .value_kind:     by_value
      - .offset:         192
        .size:           4
        .value_kind:     by_value
      - .offset:         200
        .size:           8
        .value_kind:     by_value
      - .offset:         208
        .size:           4
        .value_kind:     hidden_block_count_x
      - .offset:         212
        .size:           4
        .value_kind:     hidden_block_count_y
      - .offset:         216
        .size:           4
        .value_kind:     hidden_block_count_z
      - .offset:         220
        .size:           2
        .value_kind:     hidden_group_size_x
      - .offset:         222
        .size:           2
        .value_kind:     hidden_group_size_y
      - .offset:         224
        .size:           2
        .value_kind:     hidden_group_size_z
      - .offset:         226
        .size:           2
        .value_kind:     hidden_remainder_x
      - .offset:         228
        .size:           2
        .value_kind:     hidden_remainder_y
      - .offset:         230
        .size:           2
        .value_kind:     hidden_remainder_z
      - .offset:         248
        .size:           8
        .value_kind:     hidden_global_offset_x
      - .offset:         256
        .size:           8
        .value_kind:     hidden_global_offset_y
      - .offset:         264
        .size:           8
        .value_kind:     hidden_global_offset_z
      - .offset:         272
        .size:           2
        .value_kind:     hidden_grid_dims
    .group_segment_fixed_size: 1280
    .kernarg_segment_align: 8
    .kernarg_segment_size: 464
    .language:       OpenCL C
    .language_version:
      - 2
      - 0
    .max_flat_workgroup_size: 128
    .name:           _ZL18flash_attn_ext_vecILi128ELi1EL9ggml_type6ELS0_8ELb0EEvPKcS2_S2_S2_S2_PKiPfP15HIP_vector_typeIfLj2EEffffjfiS6_IjLj3EEiiiiiiiiiiiliiliiiiil
    .private_segment_fixed_size: 0
    .sgpr_count:     66
    .sgpr_spill_count: 0
    .symbol:         _ZL18flash_attn_ext_vecILi128ELi1EL9ggml_type6ELS0_8ELb0EEvPKcS2_S2_S2_S2_PKiPfP15HIP_vector_typeIfLj2EEffffjfiS6_IjLj3EEiiiiiiiiiiiliiliiiiil.kd
    .uniform_work_group_size: 1
    .uses_dynamic_stack: false
    .vgpr_count:     221
    .vgpr_spill_count: 0
    .wavefront_size: 64
  - .agpr_count:     0
    .args:
      - .address_space:  global
        .offset:         0
        .size:           8
        .value_kind:     global_buffer
      - .address_space:  global
        .offset:         8
        .size:           8
        .value_kind:     global_buffer
      - .offset:         16
        .size:           4
        .value_kind:     by_value
      - .offset:         20
        .size:           4
        .value_kind:     by_value
      - .offset:         24
        .size:           4
        .value_kind:     by_value
      - .offset:         28
        .size:           4
        .value_kind:     by_value
      - .offset:         32
        .size:           4
        .value_kind:     by_value
      - .offset:         36
        .size:           4
        .value_kind:     by_value
      - .offset:         40
        .size:           12
        .value_kind:     by_value
      - .offset:         52
        .size:           12
        .value_kind:     by_value
      - .offset:         64
        .size:           12
        .value_kind:     by_value
    .group_segment_fixed_size: 0
    .kernarg_segment_align: 8
    .kernarg_segment_size: 76
    .language:       OpenCL C
    .language_version:
      - 2
      - 0
    .max_flat_workgroup_size: 128
    .name:           _ZL33flash_attn_stream_k_fixup_uniformILi128ELi1ELi1EEvPfPK15HIP_vector_typeIfLj2EEiiiiiiS1_IjLj3EES5_S5_
    .private_segment_fixed_size: 0
    .sgpr_count:     24
    .sgpr_spill_count: 0
    .symbol:         _ZL33flash_attn_stream_k_fixup_uniformILi128ELi1ELi1EEvPfPK15HIP_vector_typeIfLj2EEiiiiiiS1_IjLj3EES5_S5_.kd
    .uniform_work_group_size: 1
    .uses_dynamic_stack: false
    .vgpr_count:     17
    .vgpr_spill_count: 0
    .wavefront_size: 64
  - .agpr_count:     0
    .args:
      - .address_space:  global
        .offset:         0
        .size:           8
        .value_kind:     global_buffer
      - .address_space:  global
        .offset:         8
        .size:           8
        .value_kind:     global_buffer
      - .offset:         16
        .size:           4
        .value_kind:     by_value
      - .offset:         20
        .size:           4
        .value_kind:     by_value
      - .offset:         24
        .size:           4
        .value_kind:     by_value
      - .offset:         28
        .size:           4
        .value_kind:     by_value
      - .offset:         32
        .size:           12
        .value_kind:     by_value
      - .offset:         44
        .size:           12
        .value_kind:     by_value
      - .offset:         56
        .size:           12
        .value_kind:     by_value
      - .offset:         68
        .size:           12
        .value_kind:     by_value
      - .offset:         80
        .size:           4
        .value_kind:     hidden_block_count_x
      - .offset:         84
        .size:           4
        .value_kind:     hidden_block_count_y
      - .offset:         88
        .size:           4
        .value_kind:     hidden_block_count_z
      - .offset:         92
        .size:           2
        .value_kind:     hidden_group_size_x
      - .offset:         94
        .size:           2
        .value_kind:     hidden_group_size_y
      - .offset:         96
        .size:           2
        .value_kind:     hidden_group_size_z
      - .offset:         98
        .size:           2
        .value_kind:     hidden_remainder_x
      - .offset:         100
        .size:           2
        .value_kind:     hidden_remainder_y
      - .offset:         102
        .size:           2
        .value_kind:     hidden_remainder_z
      - .offset:         120
        .size:           8
        .value_kind:     hidden_global_offset_x
      - .offset:         128
        .size:           8
        .value_kind:     hidden_global_offset_y
      - .offset:         136
        .size:           8
        .value_kind:     hidden_global_offset_z
      - .offset:         144
        .size:           2
        .value_kind:     hidden_grid_dims
    .group_segment_fixed_size: 0
    .kernarg_segment_align: 8
    .kernarg_segment_size: 336
    .language:       OpenCL C
    .language_version:
      - 2
      - 0
    .max_flat_workgroup_size: 128
    .name:           _ZL33flash_attn_stream_k_fixup_generalILi128ELi1ELi1EEvPfPK15HIP_vector_typeIfLj2EEiiiiS1_IjLj3EES5_S5_S5_
    .private_segment_fixed_size: 0
    .sgpr_count:     36
    .sgpr_spill_count: 0
    .symbol:         _ZL33flash_attn_stream_k_fixup_generalILi128ELi1ELi1EEvPfPK15HIP_vector_typeIfLj2EEiiiiS1_IjLj3EES5_S5_S5_.kd
    .uniform_work_group_size: 1
    .uses_dynamic_stack: false
    .vgpr_count:     22
    .vgpr_spill_count: 0
    .wavefront_size: 64
  - .agpr_count:     0
    .args:
      - .address_space:  global
        .offset:         0
        .size:           8
        .value_kind:     global_buffer
      - .address_space:  global
        .offset:         8
        .size:           8
        .value_kind:     global_buffer
      - .address_space:  global
        .offset:         16
        .size:           8
        .value_kind:     global_buffer
      - .offset:         24
        .size:           4
        .value_kind:     by_value
      - .offset:         32
        .size:           4
        .value_kind:     hidden_block_count_x
      - .offset:         36
        .size:           4
        .value_kind:     hidden_block_count_y
      - .offset:         40
        .size:           4
        .value_kind:     hidden_block_count_z
      - .offset:         44
        .size:           2
        .value_kind:     hidden_group_size_x
      - .offset:         46
        .size:           2
        .value_kind:     hidden_group_size_y
      - .offset:         48
        .size:           2
        .value_kind:     hidden_group_size_z
      - .offset:         50
        .size:           2
        .value_kind:     hidden_remainder_x
      - .offset:         52
        .size:           2
        .value_kind:     hidden_remainder_y
      - .offset:         54
        .size:           2
        .value_kind:     hidden_remainder_z
      - .offset:         72
        .size:           8
        .value_kind:     hidden_global_offset_x
      - .offset:         80
        .size:           8
        .value_kind:     hidden_global_offset_y
      - .offset:         88
        .size:           8
        .value_kind:     hidden_global_offset_z
      - .offset:         96
        .size:           2
        .value_kind:     hidden_grid_dims
      - .offset:         152
        .size:           4
        .value_kind:     hidden_dynamic_lds_size
    .group_segment_fixed_size: 0
    .kernarg_segment_align: 8
    .kernarg_segment_size: 288
    .language:       OpenCL C
    .language_version:
      - 2
      - 0
    .max_flat_workgroup_size: 128
    .name:           _ZL26flash_attn_combine_resultsILi128EEvPKfPK15HIP_vector_typeIfLj2EEPfi
    .private_segment_fixed_size: 0
    .sgpr_count:     30
    .sgpr_spill_count: 0
    .symbol:         _ZL26flash_attn_combine_resultsILi128EEvPKfPK15HIP_vector_typeIfLj2EEPfi.kd
    .uniform_work_group_size: 1
    .uses_dynamic_stack: false
    .vgpr_count:     51
    .vgpr_spill_count: 0
    .wavefront_size: 64
  - .agpr_count:     0
    .args:
      - .address_space:  global
        .offset:         0
        .size:           8
        .value_kind:     global_buffer
      - .address_space:  global
        .offset:         8
        .size:           8
        .value_kind:     global_buffer
      - .address_space:  global
        .offset:         16
        .size:           8
        .value_kind:     global_buffer
      - .address_space:  global
        .offset:         24
        .size:           8
        .value_kind:     global_buffer
      - .address_space:  global
        .offset:         32
        .size:           8
        .value_kind:     global_buffer
      - .address_space:  global
        .offset:         40
        .size:           8
        .value_kind:     global_buffer
      - .address_space:  global
        .offset:         48
        .size:           8
        .value_kind:     global_buffer
      - .address_space:  global
        .offset:         56
        .size:           8
        .value_kind:     global_buffer
      - .offset:         64
        .size:           4
        .value_kind:     by_value
      - .offset:         68
        .size:           4
        .value_kind:     by_value
      - .offset:         72
        .size:           4
        .value_kind:     by_value
      - .offset:         76
        .size:           4
        .value_kind:     by_value
      - .offset:         80
        .size:           4
        .value_kind:     by_value
      - .offset:         84
        .size:           4
        .value_kind:     by_value
      - .offset:         88
        .size:           4
        .value_kind:     by_value
      - .offset:         92
        .size:           12
        .value_kind:     by_value
      - .offset:         104
        .size:           4
        .value_kind:     by_value
      - .offset:         108
        .size:           4
        .value_kind:     by_value
      - .offset:         112
        .size:           4
        .value_kind:     by_value
      - .offset:         116
        .size:           4
        .value_kind:     by_value
      - .offset:         120
        .size:           4
        .value_kind:     by_value
      - .offset:         124
        .size:           4
        .value_kind:     by_value
      - .offset:         128
        .size:           4
        .value_kind:     by_value
      - .offset:         132
        .size:           4
        .value_kind:     by_value
      - .offset:         136
        .size:           4
        .value_kind:     by_value
      - .offset:         140
        .size:           4
        .value_kind:     by_value
      - .offset:         144
        .size:           4
        .value_kind:     by_value
      - .offset:         152
        .size:           8
        .value_kind:     by_value
      - .offset:         160
        .size:           4
        .value_kind:     by_value
      - .offset:         164
        .size:           4
        .value_kind:     by_value
      - .offset:         168
        .size:           8
        .value_kind:     by_value
      - .offset:         176
        .size:           4
        .value_kind:     by_value
      - .offset:         180
        .size:           4
        .value_kind:     by_value
      - .offset:         184
        .size:           4
        .value_kind:     by_value
      - .offset:         188
        .size:           4
        .value_kind:     by_value
      - .offset:         192
        .size:           4
        .value_kind:     by_value
      - .offset:         200
        .size:           8
        .value_kind:     by_value
      - .offset:         208
        .size:           4
        .value_kind:     hidden_block_count_x
      - .offset:         212
        .size:           4
        .value_kind:     hidden_block_count_y
      - .offset:         216
        .size:           4
        .value_kind:     hidden_block_count_z
      - .offset:         220
        .size:           2
        .value_kind:     hidden_group_size_x
      - .offset:         222
        .size:           2
        .value_kind:     hidden_group_size_y
      - .offset:         224
        .size:           2
        .value_kind:     hidden_group_size_z
      - .offset:         226
        .size:           2
        .value_kind:     hidden_remainder_x
      - .offset:         228
        .size:           2
        .value_kind:     hidden_remainder_y
      - .offset:         230
        .size:           2
        .value_kind:     hidden_remainder_z
      - .offset:         248
        .size:           8
        .value_kind:     hidden_global_offset_x
      - .offset:         256
        .size:           8
        .value_kind:     hidden_global_offset_y
      - .offset:         264
        .size:           8
        .value_kind:     hidden_global_offset_z
      - .offset:         272
        .size:           2
        .value_kind:     hidden_grid_dims
    .group_segment_fixed_size: 1280
    .kernarg_segment_align: 8
    .kernarg_segment_size: 464
    .language:       OpenCL C
    .language_version:
      - 2
      - 0
    .max_flat_workgroup_size: 128
    .name:           _ZL18flash_attn_ext_vecILi128ELi1EL9ggml_type6ELS0_8ELb1EEvPKcS2_S2_S2_S2_PKiPfP15HIP_vector_typeIfLj2EEffffjfiS6_IjLj3EEiiiiiiiiiiiliiliiiiil
    .private_segment_fixed_size: 0
    .sgpr_count:     67
    .sgpr_spill_count: 0
    .symbol:         _ZL18flash_attn_ext_vecILi128ELi1EL9ggml_type6ELS0_8ELb1EEvPKcS2_S2_S2_S2_PKiPfP15HIP_vector_typeIfLj2EEffffjfiS6_IjLj3EEiiiiiiiiiiiliiliiiiil.kd
    .uniform_work_group_size: 1
    .uses_dynamic_stack: false
    .vgpr_count:     224
    .vgpr_spill_count: 0
    .wavefront_size: 64
  - .agpr_count:     0
    .args:
      - .address_space:  global
        .offset:         0
        .size:           8
        .value_kind:     global_buffer
      - .address_space:  global
        .offset:         8
        .size:           8
        .value_kind:     global_buffer
      - .address_space:  global
        .offset:         16
        .size:           8
        .value_kind:     global_buffer
      - .address_space:  global
        .offset:         24
        .size:           8
        .value_kind:     global_buffer
      - .address_space:  global
        .offset:         32
        .size:           8
        .value_kind:     global_buffer
      - .address_space:  global
        .offset:         40
        .size:           8
        .value_kind:     global_buffer
      - .address_space:  global
        .offset:         48
        .size:           8
        .value_kind:     global_buffer
      - .address_space:  global
        .offset:         56
        .size:           8
        .value_kind:     global_buffer
      - .offset:         64
        .size:           4
        .value_kind:     by_value
      - .offset:         68
        .size:           4
        .value_kind:     by_value
      - .offset:         72
        .size:           4
        .value_kind:     by_value
      - .offset:         76
        .size:           4
        .value_kind:     by_value
      - .offset:         80
        .size:           4
        .value_kind:     by_value
      - .offset:         84
        .size:           4
        .value_kind:     by_value
      - .offset:         88
        .size:           4
        .value_kind:     by_value
      - .offset:         92
        .size:           12
        .value_kind:     by_value
      - .offset:         104
        .size:           4
        .value_kind:     by_value
      - .offset:         108
        .size:           4
        .value_kind:     by_value
      - .offset:         112
        .size:           4
        .value_kind:     by_value
      - .offset:         116
        .size:           4
        .value_kind:     by_value
      - .offset:         120
        .size:           4
        .value_kind:     by_value
      - .offset:         124
        .size:           4
        .value_kind:     by_value
      - .offset:         128
        .size:           4
        .value_kind:     by_value
      - .offset:         132
        .size:           4
        .value_kind:     by_value
      - .offset:         136
        .size:           4
        .value_kind:     by_value
      - .offset:         140
        .size:           4
        .value_kind:     by_value
      - .offset:         144
        .size:           4
        .value_kind:     by_value
      - .offset:         152
        .size:           8
        .value_kind:     by_value
      - .offset:         160
        .size:           4
        .value_kind:     by_value
      - .offset:         164
        .size:           4
        .value_kind:     by_value
      - .offset:         168
        .size:           8
        .value_kind:     by_value
      - .offset:         176
        .size:           4
        .value_kind:     by_value
      - .offset:         180
        .size:           4
        .value_kind:     by_value
      - .offset:         184
        .size:           4
        .value_kind:     by_value
      - .offset:         188
        .size:           4
        .value_kind:     by_value
      - .offset:         192
        .size:           4
        .value_kind:     by_value
      - .offset:         200
        .size:           8
        .value_kind:     by_value
      - .offset:         208
        .size:           4
        .value_kind:     hidden_block_count_x
      - .offset:         212
        .size:           4
        .value_kind:     hidden_block_count_y
      - .offset:         216
        .size:           4
        .value_kind:     hidden_block_count_z
      - .offset:         220
        .size:           2
        .value_kind:     hidden_group_size_x
      - .offset:         222
        .size:           2
        .value_kind:     hidden_group_size_y
      - .offset:         224
        .size:           2
        .value_kind:     hidden_group_size_z
      - .offset:         226
        .size:           2
        .value_kind:     hidden_remainder_x
      - .offset:         228
        .size:           2
        .value_kind:     hidden_remainder_y
      - .offset:         230
        .size:           2
        .value_kind:     hidden_remainder_z
      - .offset:         248
        .size:           8
        .value_kind:     hidden_global_offset_x
      - .offset:         256
        .size:           8
        .value_kind:     hidden_global_offset_y
      - .offset:         264
        .size:           8
        .value_kind:     hidden_global_offset_z
      - .offset:         272
        .size:           2
        .value_kind:     hidden_grid_dims
    .group_segment_fixed_size: 3584
    .kernarg_segment_align: 8
    .kernarg_segment_size: 464
    .language:       OpenCL C
    .language_version:
      - 2
      - 0
    .max_flat_workgroup_size: 128
    .name:           _ZL18flash_attn_ext_vecILi128ELi2EL9ggml_type6ELS0_8ELb0EEvPKcS2_S2_S2_S2_PKiPfP15HIP_vector_typeIfLj2EEffffjfiS6_IjLj3EEiiiiiiiiiiiliiliiiiil
    .private_segment_fixed_size: 0
    .sgpr_count:     71
    .sgpr_spill_count: 0
    .symbol:         _ZL18flash_attn_ext_vecILi128ELi2EL9ggml_type6ELS0_8ELb0EEvPKcS2_S2_S2_S2_PKiPfP15HIP_vector_typeIfLj2EEffffjfiS6_IjLj3EEiiiiiiiiiiiliiliiiiil.kd
    .uniform_work_group_size: 1
    .uses_dynamic_stack: false
    .vgpr_count:     245
    .vgpr_spill_count: 0
    .wavefront_size: 64
  - .agpr_count:     0
    .args:
      - .address_space:  global
        .offset:         0
        .size:           8
        .value_kind:     global_buffer
      - .address_space:  global
        .offset:         8
        .size:           8
        .value_kind:     global_buffer
      - .offset:         16
        .size:           4
        .value_kind:     by_value
      - .offset:         20
        .size:           4
        .value_kind:     by_value
      - .offset:         24
        .size:           4
        .value_kind:     by_value
      - .offset:         28
        .size:           4
        .value_kind:     by_value
      - .offset:         32
        .size:           4
        .value_kind:     by_value
      - .offset:         36
        .size:           4
        .value_kind:     by_value
      - .offset:         40
        .size:           12
        .value_kind:     by_value
      - .offset:         52
        .size:           12
        .value_kind:     by_value
      - .offset:         64
        .size:           12
        .value_kind:     by_value
    .group_segment_fixed_size: 0
    .kernarg_segment_align: 8
    .kernarg_segment_size: 76
    .language:       OpenCL C
    .language_version:
      - 2
      - 0
    .max_flat_workgroup_size: 128
    .name:           _ZL33flash_attn_stream_k_fixup_uniformILi128ELi2ELi1EEvPfPK15HIP_vector_typeIfLj2EEiiiiiiS1_IjLj3EES5_S5_
    .private_segment_fixed_size: 0
    .sgpr_count:     24
    .sgpr_spill_count: 0
    .symbol:         _ZL33flash_attn_stream_k_fixup_uniformILi128ELi2ELi1EEvPfPK15HIP_vector_typeIfLj2EEiiiiiiS1_IjLj3EES5_S5_.kd
    .uniform_work_group_size: 1
    .uses_dynamic_stack: false
    .vgpr_count:     17
    .vgpr_spill_count: 0
    .wavefront_size: 64
  - .agpr_count:     0
    .args:
      - .address_space:  global
        .offset:         0
        .size:           8
        .value_kind:     global_buffer
      - .address_space:  global
        .offset:         8
        .size:           8
        .value_kind:     global_buffer
      - .offset:         16
        .size:           4
        .value_kind:     by_value
      - .offset:         20
        .size:           4
        .value_kind:     by_value
      - .offset:         24
        .size:           4
        .value_kind:     by_value
      - .offset:         28
        .size:           4
        .value_kind:     by_value
      - .offset:         32
        .size:           12
        .value_kind:     by_value
      - .offset:         44
        .size:           12
        .value_kind:     by_value
      - .offset:         56
        .size:           12
        .value_kind:     by_value
      - .offset:         68
        .size:           12
        .value_kind:     by_value
      - .offset:         80
        .size:           4
        .value_kind:     hidden_block_count_x
      - .offset:         84
        .size:           4
        .value_kind:     hidden_block_count_y
      - .offset:         88
        .size:           4
        .value_kind:     hidden_block_count_z
      - .offset:         92
        .size:           2
        .value_kind:     hidden_group_size_x
      - .offset:         94
        .size:           2
        .value_kind:     hidden_group_size_y
      - .offset:         96
        .size:           2
        .value_kind:     hidden_group_size_z
      - .offset:         98
        .size:           2
        .value_kind:     hidden_remainder_x
      - .offset:         100
        .size:           2
        .value_kind:     hidden_remainder_y
      - .offset:         102
        .size:           2
        .value_kind:     hidden_remainder_z
      - .offset:         120
        .size:           8
        .value_kind:     hidden_global_offset_x
      - .offset:         128
        .size:           8
        .value_kind:     hidden_global_offset_y
      - .offset:         136
        .size:           8
        .value_kind:     hidden_global_offset_z
      - .offset:         144
        .size:           2
        .value_kind:     hidden_grid_dims
    .group_segment_fixed_size: 0
    .kernarg_segment_align: 8
    .kernarg_segment_size: 336
    .language:       OpenCL C
    .language_version:
      - 2
      - 0
    .max_flat_workgroup_size: 128
    .name:           _ZL33flash_attn_stream_k_fixup_generalILi128ELi2ELi1EEvPfPK15HIP_vector_typeIfLj2EEiiiiS1_IjLj3EES5_S5_S5_
    .private_segment_fixed_size: 0
    .sgpr_count:     36
    .sgpr_spill_count: 0
    .symbol:         _ZL33flash_attn_stream_k_fixup_generalILi128ELi2ELi1EEvPfPK15HIP_vector_typeIfLj2EEiiiiS1_IjLj3EES5_S5_S5_.kd
    .uniform_work_group_size: 1
    .uses_dynamic_stack: false
    .vgpr_count:     22
    .vgpr_spill_count: 0
    .wavefront_size: 64
  - .agpr_count:     0
    .args:
      - .address_space:  global
        .offset:         0
        .size:           8
        .value_kind:     global_buffer
      - .address_space:  global
        .offset:         8
        .size:           8
        .value_kind:     global_buffer
      - .address_space:  global
        .offset:         16
        .size:           8
        .value_kind:     global_buffer
      - .address_space:  global
        .offset:         24
        .size:           8
        .value_kind:     global_buffer
      - .address_space:  global
        .offset:         32
        .size:           8
        .value_kind:     global_buffer
      - .address_space:  global
        .offset:         40
        .size:           8
        .value_kind:     global_buffer
      - .address_space:  global
        .offset:         48
        .size:           8
        .value_kind:     global_buffer
      - .address_space:  global
        .offset:         56
        .size:           8
        .value_kind:     global_buffer
      - .offset:         64
        .size:           4
        .value_kind:     by_value
      - .offset:         68
        .size:           4
        .value_kind:     by_value
      - .offset:         72
        .size:           4
        .value_kind:     by_value
      - .offset:         76
        .size:           4
        .value_kind:     by_value
      - .offset:         80
        .size:           4
        .value_kind:     by_value
      - .offset:         84
        .size:           4
        .value_kind:     by_value
      - .offset:         88
        .size:           4
        .value_kind:     by_value
      - .offset:         92
        .size:           12
        .value_kind:     by_value
      - .offset:         104
        .size:           4
        .value_kind:     by_value
      - .offset:         108
        .size:           4
        .value_kind:     by_value
      - .offset:         112
        .size:           4
        .value_kind:     by_value
      - .offset:         116
        .size:           4
        .value_kind:     by_value
      - .offset:         120
        .size:           4
        .value_kind:     by_value
      - .offset:         124
        .size:           4
        .value_kind:     by_value
      - .offset:         128
        .size:           4
        .value_kind:     by_value
      - .offset:         132
        .size:           4
        .value_kind:     by_value
      - .offset:         136
        .size:           4
        .value_kind:     by_value
      - .offset:         140
        .size:           4
        .value_kind:     by_value
      - .offset:         144
        .size:           4
        .value_kind:     by_value
      - .offset:         152
        .size:           8
        .value_kind:     by_value
      - .offset:         160
        .size:           4
        .value_kind:     by_value
      - .offset:         164
        .size:           4
        .value_kind:     by_value
      - .offset:         168
        .size:           8
        .value_kind:     by_value
      - .offset:         176
        .size:           4
        .value_kind:     by_value
      - .offset:         180
        .size:           4
        .value_kind:     by_value
      - .offset:         184
        .size:           4
        .value_kind:     by_value
      - .offset:         188
        .size:           4
        .value_kind:     by_value
      - .offset:         192
        .size:           4
        .value_kind:     by_value
      - .offset:         200
        .size:           8
        .value_kind:     by_value
      - .offset:         208
        .size:           4
        .value_kind:     hidden_block_count_x
      - .offset:         212
        .size:           4
        .value_kind:     hidden_block_count_y
      - .offset:         216
        .size:           4
        .value_kind:     hidden_block_count_z
      - .offset:         220
        .size:           2
        .value_kind:     hidden_group_size_x
      - .offset:         222
        .size:           2
        .value_kind:     hidden_group_size_y
      - .offset:         224
        .size:           2
        .value_kind:     hidden_group_size_z
      - .offset:         226
        .size:           2
        .value_kind:     hidden_remainder_x
      - .offset:         228
        .size:           2
        .value_kind:     hidden_remainder_y
      - .offset:         230
        .size:           2
        .value_kind:     hidden_remainder_z
      - .offset:         248
        .size:           8
        .value_kind:     hidden_global_offset_x
      - .offset:         256
        .size:           8
        .value_kind:     hidden_global_offset_y
      - .offset:         264
        .size:           8
        .value_kind:     hidden_global_offset_z
      - .offset:         272
        .size:           2
        .value_kind:     hidden_grid_dims
    .group_segment_fixed_size: 3584
    .kernarg_segment_align: 8
    .kernarg_segment_size: 464
    .language:       OpenCL C
    .language_version:
      - 2
      - 0
    .max_flat_workgroup_size: 128
    .name:           _ZL18flash_attn_ext_vecILi128ELi2EL9ggml_type6ELS0_8ELb1EEvPKcS2_S2_S2_S2_PKiPfP15HIP_vector_typeIfLj2EEffffjfiS6_IjLj3EEiiiiiiiiiiiliiliiiiil
    .private_segment_fixed_size: 0
    .sgpr_count:     72
    .sgpr_spill_count: 0
    .symbol:         _ZL18flash_attn_ext_vecILi128ELi2EL9ggml_type6ELS0_8ELb1EEvPKcS2_S2_S2_S2_PKiPfP15HIP_vector_typeIfLj2EEffffjfiS6_IjLj3EEiiiiiiiiiiiliiliiiiil.kd
    .uniform_work_group_size: 1
    .uses_dynamic_stack: false
    .vgpr_count:     248
    .vgpr_spill_count: 0
    .wavefront_size: 64
  - .agpr_count:     0
    .args:
      - .address_space:  global
        .offset:         0
        .size:           8
        .value_kind:     global_buffer
      - .address_space:  global
        .offset:         8
        .size:           8
        .value_kind:     global_buffer
      - .address_space:  global
        .offset:         16
        .size:           8
        .value_kind:     global_buffer
      - .address_space:  global
        .offset:         24
        .size:           8
        .value_kind:     global_buffer
      - .address_space:  global
        .offset:         32
        .size:           8
        .value_kind:     global_buffer
      - .address_space:  global
        .offset:         40
        .size:           8
        .value_kind:     global_buffer
      - .address_space:  global
        .offset:         48
        .size:           8
        .value_kind:     global_buffer
      - .address_space:  global
        .offset:         56
        .size:           8
        .value_kind:     global_buffer
      - .offset:         64
        .size:           4
        .value_kind:     by_value
      - .offset:         68
        .size:           4
        .value_kind:     by_value
      - .offset:         72
        .size:           4
        .value_kind:     by_value
      - .offset:         76
        .size:           4
        .value_kind:     by_value
      - .offset:         80
        .size:           4
        .value_kind:     by_value
      - .offset:         84
        .size:           4
        .value_kind:     by_value
      - .offset:         88
        .size:           4
        .value_kind:     by_value
      - .offset:         92
        .size:           12
        .value_kind:     by_value
      - .offset:         104
        .size:           4
        .value_kind:     by_value
      - .offset:         108
        .size:           4
        .value_kind:     by_value
      - .offset:         112
        .size:           4
        .value_kind:     by_value
      - .offset:         116
        .size:           4
        .value_kind:     by_value
      - .offset:         120
        .size:           4
        .value_kind:     by_value
      - .offset:         124
        .size:           4
        .value_kind:     by_value
      - .offset:         128
        .size:           4
        .value_kind:     by_value
      - .offset:         132
        .size:           4
        .value_kind:     by_value
      - .offset:         136
        .size:           4
        .value_kind:     by_value
      - .offset:         140
        .size:           4
        .value_kind:     by_value
      - .offset:         144
        .size:           4
        .value_kind:     by_value
      - .offset:         152
        .size:           8
        .value_kind:     by_value
      - .offset:         160
        .size:           4
        .value_kind:     by_value
      - .offset:         164
        .size:           4
        .value_kind:     by_value
      - .offset:         168
        .size:           8
        .value_kind:     by_value
      - .offset:         176
        .size:           4
        .value_kind:     by_value
      - .offset:         180
        .size:           4
        .value_kind:     by_value
      - .offset:         184
        .size:           4
        .value_kind:     by_value
      - .offset:         188
        .size:           4
        .value_kind:     by_value
      - .offset:         192
        .size:           4
        .value_kind:     by_value
      - .offset:         200
        .size:           8
        .value_kind:     by_value
      - .offset:         208
        .size:           4
        .value_kind:     hidden_block_count_x
      - .offset:         212
        .size:           4
        .value_kind:     hidden_block_count_y
      - .offset:         216
        .size:           4
        .value_kind:     hidden_block_count_z
      - .offset:         220
        .size:           2
        .value_kind:     hidden_group_size_x
      - .offset:         222
        .size:           2
        .value_kind:     hidden_group_size_y
      - .offset:         224
        .size:           2
        .value_kind:     hidden_group_size_z
      - .offset:         226
        .size:           2
        .value_kind:     hidden_remainder_x
      - .offset:         228
        .size:           2
        .value_kind:     hidden_remainder_y
      - .offset:         230
        .size:           2
        .value_kind:     hidden_remainder_z
      - .offset:         248
        .size:           8
        .value_kind:     hidden_global_offset_x
      - .offset:         256
        .size:           8
        .value_kind:     hidden_global_offset_y
      - .offset:         264
        .size:           8
        .value_kind:     hidden_global_offset_z
      - .offset:         272
        .size:           2
        .value_kind:     hidden_grid_dims
    .group_segment_fixed_size: 2304
    .kernarg_segment_align: 8
    .kernarg_segment_size: 464
    .language:       OpenCL C
    .language_version:
      - 2
      - 0
    .max_flat_workgroup_size: 128
    .name:           _ZL18flash_attn_ext_vecILi256ELi1EL9ggml_type6ELS0_8ELb0EEvPKcS2_S2_S2_S2_PKiPfP15HIP_vector_typeIfLj2EEffffjfiS6_IjLj3EEiiiiiiiiiiiliiliiiiil
    .private_segment_fixed_size: 0
    .sgpr_count:     56
    .sgpr_spill_count: 0
    .symbol:         _ZL18flash_attn_ext_vecILi256ELi1EL9ggml_type6ELS0_8ELb0EEvPKcS2_S2_S2_S2_PKiPfP15HIP_vector_typeIfLj2EEffffjfiS6_IjLj3EEiiiiiiiiiiiliiliiiiil.kd
    .uniform_work_group_size: 1
    .uses_dynamic_stack: false
    .vgpr_count:     167
    .vgpr_spill_count: 0
    .wavefront_size: 64
  - .agpr_count:     0
    .args:
      - .address_space:  global
        .offset:         0
        .size:           8
        .value_kind:     global_buffer
      - .address_space:  global
        .offset:         8
        .size:           8
        .value_kind:     global_buffer
      - .offset:         16
        .size:           4
        .value_kind:     by_value
      - .offset:         20
        .size:           4
        .value_kind:     by_value
      - .offset:         24
        .size:           4
        .value_kind:     by_value
      - .offset:         28
        .size:           4
        .value_kind:     by_value
      - .offset:         32
        .size:           4
        .value_kind:     by_value
      - .offset:         36
        .size:           4
        .value_kind:     by_value
      - .offset:         40
        .size:           12
        .value_kind:     by_value
      - .offset:         52
        .size:           12
        .value_kind:     by_value
      - .offset:         64
        .size:           12
        .value_kind:     by_value
    .group_segment_fixed_size: 0
    .kernarg_segment_align: 8
    .kernarg_segment_size: 76
    .language:       OpenCL C
    .language_version:
      - 2
      - 0
    .max_flat_workgroup_size: 256
    .name:           _ZL33flash_attn_stream_k_fixup_uniformILi256ELi1ELi1EEvPfPK15HIP_vector_typeIfLj2EEiiiiiiS1_IjLj3EES5_S5_
    .private_segment_fixed_size: 0
    .sgpr_count:     24
    .sgpr_spill_count: 0
    .symbol:         _ZL33flash_attn_stream_k_fixup_uniformILi256ELi1ELi1EEvPfPK15HIP_vector_typeIfLj2EEiiiiiiS1_IjLj3EES5_S5_.kd
    .uniform_work_group_size: 1
    .uses_dynamic_stack: false
    .vgpr_count:     17
    .vgpr_spill_count: 0
    .wavefront_size: 64
  - .agpr_count:     0
    .args:
      - .address_space:  global
        .offset:         0
        .size:           8
        .value_kind:     global_buffer
      - .address_space:  global
        .offset:         8
        .size:           8
        .value_kind:     global_buffer
      - .offset:         16
        .size:           4
        .value_kind:     by_value
      - .offset:         20
        .size:           4
        .value_kind:     by_value
      - .offset:         24
        .size:           4
        .value_kind:     by_value
      - .offset:         28
        .size:           4
        .value_kind:     by_value
      - .offset:         32
        .size:           12
        .value_kind:     by_value
      - .offset:         44
        .size:           12
        .value_kind:     by_value
      - .offset:         56
        .size:           12
        .value_kind:     by_value
      - .offset:         68
        .size:           12
        .value_kind:     by_value
      - .offset:         80
        .size:           4
        .value_kind:     hidden_block_count_x
      - .offset:         84
        .size:           4
        .value_kind:     hidden_block_count_y
      - .offset:         88
        .size:           4
        .value_kind:     hidden_block_count_z
      - .offset:         92
        .size:           2
        .value_kind:     hidden_group_size_x
      - .offset:         94
        .size:           2
        .value_kind:     hidden_group_size_y
      - .offset:         96
        .size:           2
        .value_kind:     hidden_group_size_z
      - .offset:         98
        .size:           2
        .value_kind:     hidden_remainder_x
      - .offset:         100
        .size:           2
        .value_kind:     hidden_remainder_y
      - .offset:         102
        .size:           2
        .value_kind:     hidden_remainder_z
      - .offset:         120
        .size:           8
        .value_kind:     hidden_global_offset_x
      - .offset:         128
        .size:           8
        .value_kind:     hidden_global_offset_y
      - .offset:         136
        .size:           8
        .value_kind:     hidden_global_offset_z
      - .offset:         144
        .size:           2
        .value_kind:     hidden_grid_dims
    .group_segment_fixed_size: 0
    .kernarg_segment_align: 8
    .kernarg_segment_size: 336
    .language:       OpenCL C
    .language_version:
      - 2
      - 0
    .max_flat_workgroup_size: 256
    .name:           _ZL33flash_attn_stream_k_fixup_generalILi256ELi1ELi1EEvPfPK15HIP_vector_typeIfLj2EEiiiiS1_IjLj3EES5_S5_S5_
    .private_segment_fixed_size: 0
    .sgpr_count:     36
    .sgpr_spill_count: 0
    .symbol:         _ZL33flash_attn_stream_k_fixup_generalILi256ELi1ELi1EEvPfPK15HIP_vector_typeIfLj2EEiiiiS1_IjLj3EES5_S5_S5_.kd
    .uniform_work_group_size: 1
    .uses_dynamic_stack: false
    .vgpr_count:     22
    .vgpr_spill_count: 0
    .wavefront_size: 64
  - .agpr_count:     0
    .args:
      - .address_space:  global
        .offset:         0
        .size:           8
        .value_kind:     global_buffer
      - .address_space:  global
        .offset:         8
        .size:           8
        .value_kind:     global_buffer
      - .address_space:  global
        .offset:         16
        .size:           8
        .value_kind:     global_buffer
      - .offset:         24
        .size:           4
        .value_kind:     by_value
      - .offset:         32
        .size:           4
        .value_kind:     hidden_block_count_x
      - .offset:         36
        .size:           4
        .value_kind:     hidden_block_count_y
      - .offset:         40
        .size:           4
        .value_kind:     hidden_block_count_z
      - .offset:         44
        .size:           2
        .value_kind:     hidden_group_size_x
      - .offset:         46
        .size:           2
        .value_kind:     hidden_group_size_y
      - .offset:         48
        .size:           2
        .value_kind:     hidden_group_size_z
      - .offset:         50
        .size:           2
        .value_kind:     hidden_remainder_x
      - .offset:         52
        .size:           2
        .value_kind:     hidden_remainder_y
      - .offset:         54
        .size:           2
        .value_kind:     hidden_remainder_z
      - .offset:         72
        .size:           8
        .value_kind:     hidden_global_offset_x
      - .offset:         80
        .size:           8
        .value_kind:     hidden_global_offset_y
      - .offset:         88
        .size:           8
        .value_kind:     hidden_global_offset_z
      - .offset:         96
        .size:           2
        .value_kind:     hidden_grid_dims
      - .offset:         152
        .size:           4
        .value_kind:     hidden_dynamic_lds_size
    .group_segment_fixed_size: 0
    .kernarg_segment_align: 8
    .kernarg_segment_size: 288
    .language:       OpenCL C
    .language_version:
      - 2
      - 0
    .max_flat_workgroup_size: 256
    .name:           _ZL26flash_attn_combine_resultsILi256EEvPKfPK15HIP_vector_typeIfLj2EEPfi
    .private_segment_fixed_size: 0
    .sgpr_count:     30
    .sgpr_spill_count: 0
    .symbol:         _ZL26flash_attn_combine_resultsILi256EEvPKfPK15HIP_vector_typeIfLj2EEPfi.kd
    .uniform_work_group_size: 1
    .uses_dynamic_stack: false
    .vgpr_count:     51
    .vgpr_spill_count: 0
    .wavefront_size: 64
  - .agpr_count:     0
    .args:
      - .address_space:  global
        .offset:         0
        .size:           8
        .value_kind:     global_buffer
      - .address_space:  global
        .offset:         8
        .size:           8
        .value_kind:     global_buffer
      - .address_space:  global
        .offset:         16
        .size:           8
        .value_kind:     global_buffer
      - .address_space:  global
        .offset:         24
        .size:           8
        .value_kind:     global_buffer
      - .address_space:  global
        .offset:         32
        .size:           8
        .value_kind:     global_buffer
      - .address_space:  global
        .offset:         40
        .size:           8
        .value_kind:     global_buffer
      - .address_space:  global
        .offset:         48
        .size:           8
        .value_kind:     global_buffer
      - .address_space:  global
        .offset:         56
        .size:           8
        .value_kind:     global_buffer
      - .offset:         64
        .size:           4
        .value_kind:     by_value
      - .offset:         68
        .size:           4
        .value_kind:     by_value
      - .offset:         72
        .size:           4
        .value_kind:     by_value
      - .offset:         76
        .size:           4
        .value_kind:     by_value
      - .offset:         80
        .size:           4
        .value_kind:     by_value
      - .offset:         84
        .size:           4
        .value_kind:     by_value
      - .offset:         88
        .size:           4
        .value_kind:     by_value
      - .offset:         92
        .size:           12
        .value_kind:     by_value
      - .offset:         104
        .size:           4
        .value_kind:     by_value
      - .offset:         108
        .size:           4
        .value_kind:     by_value
      - .offset:         112
        .size:           4
        .value_kind:     by_value
      - .offset:         116
        .size:           4
        .value_kind:     by_value
      - .offset:         120
        .size:           4
        .value_kind:     by_value
      - .offset:         124
        .size:           4
        .value_kind:     by_value
      - .offset:         128
        .size:           4
        .value_kind:     by_value
      - .offset:         132
        .size:           4
        .value_kind:     by_value
      - .offset:         136
        .size:           4
        .value_kind:     by_value
      - .offset:         140
        .size:           4
        .value_kind:     by_value
      - .offset:         144
        .size:           4
        .value_kind:     by_value
      - .offset:         152
        .size:           8
        .value_kind:     by_value
      - .offset:         160
        .size:           4
        .value_kind:     by_value
      - .offset:         164
        .size:           4
        .value_kind:     by_value
      - .offset:         168
        .size:           8
        .value_kind:     by_value
      - .offset:         176
        .size:           4
        .value_kind:     by_value
      - .offset:         180
        .size:           4
        .value_kind:     by_value
      - .offset:         184
        .size:           4
        .value_kind:     by_value
      - .offset:         188
        .size:           4
        .value_kind:     by_value
      - .offset:         192
        .size:           4
        .value_kind:     by_value
      - .offset:         200
        .size:           8
        .value_kind:     by_value
      - .offset:         208
        .size:           4
        .value_kind:     hidden_block_count_x
      - .offset:         212
        .size:           4
        .value_kind:     hidden_block_count_y
      - .offset:         216
        .size:           4
        .value_kind:     hidden_block_count_z
      - .offset:         220
        .size:           2
        .value_kind:     hidden_group_size_x
      - .offset:         222
        .size:           2
        .value_kind:     hidden_group_size_y
      - .offset:         224
        .size:           2
        .value_kind:     hidden_group_size_z
      - .offset:         226
        .size:           2
        .value_kind:     hidden_remainder_x
      - .offset:         228
        .size:           2
        .value_kind:     hidden_remainder_y
      - .offset:         230
        .size:           2
        .value_kind:     hidden_remainder_z
      - .offset:         248
        .size:           8
        .value_kind:     hidden_global_offset_x
      - .offset:         256
        .size:           8
        .value_kind:     hidden_global_offset_y
      - .offset:         264
        .size:           8
        .value_kind:     hidden_global_offset_z
      - .offset:         272
        .size:           2
        .value_kind:     hidden_grid_dims
    .group_segment_fixed_size: 2304
    .kernarg_segment_align: 8
    .kernarg_segment_size: 464
    .language:       OpenCL C
    .language_version:
      - 2
      - 0
    .max_flat_workgroup_size: 128
    .name:           _ZL18flash_attn_ext_vecILi256ELi1EL9ggml_type6ELS0_8ELb1EEvPKcS2_S2_S2_S2_PKiPfP15HIP_vector_typeIfLj2EEffffjfiS6_IjLj3EEiiiiiiiiiiiliiliiiiil
    .private_segment_fixed_size: 0
    .sgpr_count:     58
    .sgpr_spill_count: 0
    .symbol:         _ZL18flash_attn_ext_vecILi256ELi1EL9ggml_type6ELS0_8ELb1EEvPKcS2_S2_S2_S2_PKiPfP15HIP_vector_typeIfLj2EEffffjfiS6_IjLj3EEiiiiiiiiiiiliiliiiiil.kd
    .uniform_work_group_size: 1
    .uses_dynamic_stack: false
    .vgpr_count:     160
    .vgpr_spill_count: 0
    .wavefront_size: 64
  - .agpr_count:     0
    .args:
      - .address_space:  global
        .offset:         0
        .size:           8
        .value_kind:     global_buffer
      - .address_space:  global
        .offset:         8
        .size:           8
        .value_kind:     global_buffer
      - .address_space:  global
        .offset:         16
        .size:           8
        .value_kind:     global_buffer
      - .address_space:  global
        .offset:         24
        .size:           8
        .value_kind:     global_buffer
      - .address_space:  global
        .offset:         32
        .size:           8
        .value_kind:     global_buffer
      - .address_space:  global
        .offset:         40
        .size:           8
        .value_kind:     global_buffer
      - .address_space:  global
        .offset:         48
        .size:           8
        .value_kind:     global_buffer
      - .address_space:  global
        .offset:         56
        .size:           8
        .value_kind:     global_buffer
      - .offset:         64
        .size:           4
        .value_kind:     by_value
      - .offset:         68
        .size:           4
        .value_kind:     by_value
      - .offset:         72
        .size:           4
        .value_kind:     by_value
      - .offset:         76
        .size:           4
        .value_kind:     by_value
      - .offset:         80
        .size:           4
        .value_kind:     by_value
      - .offset:         84
        .size:           4
        .value_kind:     by_value
      - .offset:         88
        .size:           4
        .value_kind:     by_value
      - .offset:         92
        .size:           12
        .value_kind:     by_value
      - .offset:         104
        .size:           4
        .value_kind:     by_value
      - .offset:         108
        .size:           4
        .value_kind:     by_value
      - .offset:         112
        .size:           4
        .value_kind:     by_value
      - .offset:         116
        .size:           4
        .value_kind:     by_value
      - .offset:         120
        .size:           4
        .value_kind:     by_value
      - .offset:         124
        .size:           4
        .value_kind:     by_value
      - .offset:         128
        .size:           4
        .value_kind:     by_value
      - .offset:         132
        .size:           4
        .value_kind:     by_value
      - .offset:         136
        .size:           4
        .value_kind:     by_value
      - .offset:         140
        .size:           4
        .value_kind:     by_value
      - .offset:         144
        .size:           4
        .value_kind:     by_value
      - .offset:         152
        .size:           8
        .value_kind:     by_value
      - .offset:         160
        .size:           4
        .value_kind:     by_value
      - .offset:         164
        .size:           4
        .value_kind:     by_value
      - .offset:         168
        .size:           8
        .value_kind:     by_value
      - .offset:         176
        .size:           4
        .value_kind:     by_value
      - .offset:         180
        .size:           4
        .value_kind:     by_value
      - .offset:         184
        .size:           4
        .value_kind:     by_value
      - .offset:         188
        .size:           4
        .value_kind:     by_value
      - .offset:         192
        .size:           4
        .value_kind:     by_value
      - .offset:         200
        .size:           8
        .value_kind:     by_value
      - .offset:         208
        .size:           4
        .value_kind:     hidden_block_count_x
      - .offset:         212
        .size:           4
        .value_kind:     hidden_block_count_y
      - .offset:         216
        .size:           4
        .value_kind:     hidden_block_count_z
      - .offset:         220
        .size:           2
        .value_kind:     hidden_group_size_x
      - .offset:         222
        .size:           2
        .value_kind:     hidden_group_size_y
      - .offset:         224
        .size:           2
        .value_kind:     hidden_group_size_z
      - .offset:         226
        .size:           2
        .value_kind:     hidden_remainder_x
      - .offset:         228
        .size:           2
        .value_kind:     hidden_remainder_y
      - .offset:         230
        .size:           2
        .value_kind:     hidden_remainder_z
      - .offset:         248
        .size:           8
        .value_kind:     hidden_global_offset_x
      - .offset:         256
        .size:           8
        .value_kind:     hidden_global_offset_y
      - .offset:         264
        .size:           8
        .value_kind:     hidden_global_offset_z
      - .offset:         272
        .size:           2
        .value_kind:     hidden_grid_dims
    .group_segment_fixed_size: 2560
    .kernarg_segment_align: 8
    .kernarg_segment_size: 464
    .language:       OpenCL C
    .language_version:
      - 2
      - 0
    .max_flat_workgroup_size: 128
    .name:           _ZL18flash_attn_ext_vecILi256ELi2EL9ggml_type6ELS0_8ELb0EEvPKcS2_S2_S2_S2_PKiPfP15HIP_vector_typeIfLj2EEffffjfiS6_IjLj3EEiiiiiiiiiiiliiliiiiil
    .private_segment_fixed_size: 48
    .sgpr_count:     60
    .sgpr_spill_count: 0
    .symbol:         _ZL18flash_attn_ext_vecILi256ELi2EL9ggml_type6ELS0_8ELb0EEvPKcS2_S2_S2_S2_PKiPfP15HIP_vector_typeIfLj2EEffffjfiS6_IjLj3EEiiiiiiiiiiiliiliiiiil.kd
    .uniform_work_group_size: 1
    .uses_dynamic_stack: false
    .vgpr_count:     217
    .vgpr_spill_count: 0
    .wavefront_size: 64
  - .agpr_count:     0
    .args:
      - .address_space:  global
        .offset:         0
        .size:           8
        .value_kind:     global_buffer
      - .address_space:  global
        .offset:         8
        .size:           8
        .value_kind:     global_buffer
      - .offset:         16
        .size:           4
        .value_kind:     by_value
      - .offset:         20
        .size:           4
        .value_kind:     by_value
      - .offset:         24
        .size:           4
        .value_kind:     by_value
      - .offset:         28
        .size:           4
        .value_kind:     by_value
      - .offset:         32
        .size:           4
        .value_kind:     by_value
      - .offset:         36
        .size:           4
        .value_kind:     by_value
      - .offset:         40
        .size:           12
        .value_kind:     by_value
      - .offset:         52
        .size:           12
        .value_kind:     by_value
      - .offset:         64
        .size:           12
        .value_kind:     by_value
    .group_segment_fixed_size: 0
    .kernarg_segment_align: 8
    .kernarg_segment_size: 76
    .language:       OpenCL C
    .language_version:
      - 2
      - 0
    .max_flat_workgroup_size: 256
    .name:           _ZL33flash_attn_stream_k_fixup_uniformILi256ELi2ELi1EEvPfPK15HIP_vector_typeIfLj2EEiiiiiiS1_IjLj3EES5_S5_
    .private_segment_fixed_size: 0
    .sgpr_count:     24
    .sgpr_spill_count: 0
    .symbol:         _ZL33flash_attn_stream_k_fixup_uniformILi256ELi2ELi1EEvPfPK15HIP_vector_typeIfLj2EEiiiiiiS1_IjLj3EES5_S5_.kd
    .uniform_work_group_size: 1
    .uses_dynamic_stack: false
    .vgpr_count:     17
    .vgpr_spill_count: 0
    .wavefront_size: 64
  - .agpr_count:     0
    .args:
      - .address_space:  global
        .offset:         0
        .size:           8
        .value_kind:     global_buffer
      - .address_space:  global
        .offset:         8
        .size:           8
        .value_kind:     global_buffer
      - .offset:         16
        .size:           4
        .value_kind:     by_value
      - .offset:         20
        .size:           4
        .value_kind:     by_value
      - .offset:         24
        .size:           4
        .value_kind:     by_value
      - .offset:         28
        .size:           4
        .value_kind:     by_value
      - .offset:         32
        .size:           12
        .value_kind:     by_value
      - .offset:         44
        .size:           12
        .value_kind:     by_value
      - .offset:         56
        .size:           12
        .value_kind:     by_value
      - .offset:         68
        .size:           12
        .value_kind:     by_value
      - .offset:         80
        .size:           4
        .value_kind:     hidden_block_count_x
      - .offset:         84
        .size:           4
        .value_kind:     hidden_block_count_y
      - .offset:         88
        .size:           4
        .value_kind:     hidden_block_count_z
      - .offset:         92
        .size:           2
        .value_kind:     hidden_group_size_x
      - .offset:         94
        .size:           2
        .value_kind:     hidden_group_size_y
      - .offset:         96
        .size:           2
        .value_kind:     hidden_group_size_z
      - .offset:         98
        .size:           2
        .value_kind:     hidden_remainder_x
      - .offset:         100
        .size:           2
        .value_kind:     hidden_remainder_y
      - .offset:         102
        .size:           2
        .value_kind:     hidden_remainder_z
      - .offset:         120
        .size:           8
        .value_kind:     hidden_global_offset_x
      - .offset:         128
        .size:           8
        .value_kind:     hidden_global_offset_y
      - .offset:         136
        .size:           8
        .value_kind:     hidden_global_offset_z
      - .offset:         144
        .size:           2
        .value_kind:     hidden_grid_dims
    .group_segment_fixed_size: 0
    .kernarg_segment_align: 8
    .kernarg_segment_size: 336
    .language:       OpenCL C
    .language_version:
      - 2
      - 0
    .max_flat_workgroup_size: 256
    .name:           _ZL33flash_attn_stream_k_fixup_generalILi256ELi2ELi1EEvPfPK15HIP_vector_typeIfLj2EEiiiiS1_IjLj3EES5_S5_S5_
    .private_segment_fixed_size: 0
    .sgpr_count:     36
    .sgpr_spill_count: 0
    .symbol:         _ZL33flash_attn_stream_k_fixup_generalILi256ELi2ELi1EEvPfPK15HIP_vector_typeIfLj2EEiiiiS1_IjLj3EES5_S5_S5_.kd
    .uniform_work_group_size: 1
    .uses_dynamic_stack: false
    .vgpr_count:     22
    .vgpr_spill_count: 0
    .wavefront_size: 64
  - .agpr_count:     0
    .args:
      - .address_space:  global
        .offset:         0
        .size:           8
        .value_kind:     global_buffer
      - .address_space:  global
        .offset:         8
        .size:           8
        .value_kind:     global_buffer
      - .address_space:  global
        .offset:         16
        .size:           8
        .value_kind:     global_buffer
      - .address_space:  global
        .offset:         24
        .size:           8
        .value_kind:     global_buffer
      - .address_space:  global
        .offset:         32
        .size:           8
        .value_kind:     global_buffer
      - .address_space:  global
        .offset:         40
        .size:           8
        .value_kind:     global_buffer
      - .address_space:  global
        .offset:         48
        .size:           8
        .value_kind:     global_buffer
      - .address_space:  global
        .offset:         56
        .size:           8
        .value_kind:     global_buffer
      - .offset:         64
        .size:           4
        .value_kind:     by_value
      - .offset:         68
        .size:           4
        .value_kind:     by_value
      - .offset:         72
        .size:           4
        .value_kind:     by_value
      - .offset:         76
        .size:           4
        .value_kind:     by_value
      - .offset:         80
        .size:           4
        .value_kind:     by_value
      - .offset:         84
        .size:           4
        .value_kind:     by_value
      - .offset:         88
        .size:           4
        .value_kind:     by_value
      - .offset:         92
        .size:           12
        .value_kind:     by_value
      - .offset:         104
        .size:           4
        .value_kind:     by_value
      - .offset:         108
        .size:           4
        .value_kind:     by_value
      - .offset:         112
        .size:           4
        .value_kind:     by_value
      - .offset:         116
        .size:           4
        .value_kind:     by_value
      - .offset:         120
        .size:           4
        .value_kind:     by_value
      - .offset:         124
        .size:           4
        .value_kind:     by_value
      - .offset:         128
        .size:           4
        .value_kind:     by_value
      - .offset:         132
        .size:           4
        .value_kind:     by_value
      - .offset:         136
        .size:           4
        .value_kind:     by_value
      - .offset:         140
        .size:           4
        .value_kind:     by_value
      - .offset:         144
        .size:           4
        .value_kind:     by_value
      - .offset:         152
        .size:           8
        .value_kind:     by_value
      - .offset:         160
        .size:           4
        .value_kind:     by_value
      - .offset:         164
        .size:           4
        .value_kind:     by_value
      - .offset:         168
        .size:           8
        .value_kind:     by_value
      - .offset:         176
        .size:           4
        .value_kind:     by_value
      - .offset:         180
        .size:           4
        .value_kind:     by_value
      - .offset:         184
        .size:           4
        .value_kind:     by_value
      - .offset:         188
        .size:           4
        .value_kind:     by_value
      - .offset:         192
        .size:           4
        .value_kind:     by_value
      - .offset:         200
        .size:           8
        .value_kind:     by_value
      - .offset:         208
        .size:           4
        .value_kind:     hidden_block_count_x
      - .offset:         212
        .size:           4
        .value_kind:     hidden_block_count_y
      - .offset:         216
        .size:           4
        .value_kind:     hidden_block_count_z
      - .offset:         220
        .size:           2
        .value_kind:     hidden_group_size_x
      - .offset:         222
        .size:           2
        .value_kind:     hidden_group_size_y
      - .offset:         224
        .size:           2
        .value_kind:     hidden_group_size_z
      - .offset:         226
        .size:           2
        .value_kind:     hidden_remainder_x
      - .offset:         228
        .size:           2
        .value_kind:     hidden_remainder_y
      - .offset:         230
        .size:           2
        .value_kind:     hidden_remainder_z
      - .offset:         248
        .size:           8
        .value_kind:     hidden_global_offset_x
      - .offset:         256
        .size:           8
        .value_kind:     hidden_global_offset_y
      - .offset:         264
        .size:           8
        .value_kind:     hidden_global_offset_z
      - .offset:         272
        .size:           2
        .value_kind:     hidden_grid_dims
    .group_segment_fixed_size: 2560
    .kernarg_segment_align: 8
    .kernarg_segment_size: 464
    .language:       OpenCL C
    .language_version:
      - 2
      - 0
    .max_flat_workgroup_size: 128
    .name:           _ZL18flash_attn_ext_vecILi256ELi2EL9ggml_type6ELS0_8ELb1EEvPKcS2_S2_S2_S2_PKiPfP15HIP_vector_typeIfLj2EEffffjfiS6_IjLj3EEiiiiiiiiiiiliiliiiiil
    .private_segment_fixed_size: 48
    .sgpr_count:     64
    .sgpr_spill_count: 0
    .symbol:         _ZL18flash_attn_ext_vecILi256ELi2EL9ggml_type6ELS0_8ELb1EEvPKcS2_S2_S2_S2_PKiPfP15HIP_vector_typeIfLj2EEffffjfiS6_IjLj3EEiiiiiiiiiiiliiliiiiil.kd
    .uniform_work_group_size: 1
    .uses_dynamic_stack: false
    .vgpr_count:     220
    .vgpr_spill_count: 0
    .wavefront_size: 64
amdhsa.target:   amdgcn-amd-amdhsa--gfx90a
amdhsa.version:
  - 1
  - 2
...

	.end_amdgpu_metadata
